;; amdgpu-corpus repo=ROCm/rocFFT kind=compiled arch=gfx1030 opt=O3
	.text
	.amdgcn_target "amdgcn-amd-amdhsa--gfx1030"
	.amdhsa_code_object_version 6
	.protected	fft_rtc_back_len546_factors_13_3_7_2_wgs_117_tpt_39_halfLds_sp_op_CI_CI_unitstride_sbrr_dirReg ; -- Begin function fft_rtc_back_len546_factors_13_3_7_2_wgs_117_tpt_39_halfLds_sp_op_CI_CI_unitstride_sbrr_dirReg
	.globl	fft_rtc_back_len546_factors_13_3_7_2_wgs_117_tpt_39_halfLds_sp_op_CI_CI_unitstride_sbrr_dirReg
	.p2align	8
	.type	fft_rtc_back_len546_factors_13_3_7_2_wgs_117_tpt_39_halfLds_sp_op_CI_CI_unitstride_sbrr_dirReg,@function
fft_rtc_back_len546_factors_13_3_7_2_wgs_117_tpt_39_halfLds_sp_op_CI_CI_unitstride_sbrr_dirReg: ; @fft_rtc_back_len546_factors_13_3_7_2_wgs_117_tpt_39_halfLds_sp_op_CI_CI_unitstride_sbrr_dirReg
; %bb.0:
	s_load_dwordx4 s[12:15], s[4:5], 0x0
	v_mul_u32_u24_e32 v1, 0x691, v0
	s_clause 0x1
	s_load_dwordx4 s[8:11], s[4:5], 0x58
	s_load_dwordx4 s[16:19], s[4:5], 0x18
	v_mov_b32_e32 v3, 0
	v_mov_b32_e32 v60, 0
	;; [unrolled: 1-line block ×3, first 2 shown]
	v_lshrrev_b32_e32 v1, 16, v1
	v_mad_u64_u32 v[49:50], null, s6, 3, v[1:2]
	v_mov_b32_e32 v50, v3
	v_mov_b32_e32 v1, v60
	;; [unrolled: 1-line block ×4, first 2 shown]
	s_waitcnt lgkmcnt(0)
	v_cmp_lt_u64_e64 s0, s[14:15], 2
	v_mov_b32_e32 v6, v50
	s_and_b32 vcc_lo, exec_lo, s0
	s_cbranch_vccnz .LBB0_8
; %bb.1:
	s_load_dwordx2 s[0:1], s[4:5], 0x10
	v_mov_b32_e32 v60, 0
	v_mov_b32_e32 v61, 0
	s_add_u32 s2, s18, 8
	v_mov_b32_e32 v7, v49
	s_addc_u32 s3, s19, 0
	v_mov_b32_e32 v1, v60
	v_mov_b32_e32 v8, v50
	s_add_u32 s6, s16, 8
	v_mov_b32_e32 v2, v61
	s_addc_u32 s7, s17, 0
	s_mov_b64 s[22:23], 1
	s_waitcnt lgkmcnt(0)
	s_add_u32 s20, s0, 8
	s_addc_u32 s21, s1, 0
.LBB0_2:                                ; =>This Inner Loop Header: Depth=1
	s_load_dwordx2 s[24:25], s[20:21], 0x0
                                        ; implicit-def: $vgpr5_vgpr6
	s_mov_b32 s0, exec_lo
	s_waitcnt lgkmcnt(0)
	v_or_b32_e32 v4, s25, v8
	v_cmpx_ne_u64_e32 0, v[3:4]
	s_xor_b32 s1, exec_lo, s0
	s_cbranch_execz .LBB0_4
; %bb.3:                                ;   in Loop: Header=BB0_2 Depth=1
	v_cvt_f32_u32_e32 v4, s24
	v_cvt_f32_u32_e32 v5, s25
	s_sub_u32 s0, 0, s24
	s_subb_u32 s26, 0, s25
	v_fmac_f32_e32 v4, 0x4f800000, v5
	v_rcp_f32_e32 v4, v4
	v_mul_f32_e32 v4, 0x5f7ffffc, v4
	v_mul_f32_e32 v5, 0x2f800000, v4
	v_trunc_f32_e32 v5, v5
	v_fmac_f32_e32 v4, 0xcf800000, v5
	v_cvt_u32_f32_e32 v5, v5
	v_cvt_u32_f32_e32 v4, v4
	v_mul_lo_u32 v6, s0, v5
	v_mul_hi_u32 v9, s0, v4
	v_mul_lo_u32 v10, s26, v4
	v_add_nc_u32_e32 v6, v9, v6
	v_mul_lo_u32 v9, s0, v4
	v_add_nc_u32_e32 v6, v6, v10
	v_mul_hi_u32 v10, v4, v9
	v_mul_lo_u32 v11, v4, v6
	v_mul_hi_u32 v12, v4, v6
	v_mul_hi_u32 v13, v5, v9
	v_mul_lo_u32 v9, v5, v9
	v_mul_hi_u32 v14, v5, v6
	v_mul_lo_u32 v6, v5, v6
	v_add_co_u32 v10, vcc_lo, v10, v11
	v_add_co_ci_u32_e32 v11, vcc_lo, 0, v12, vcc_lo
	v_add_co_u32 v9, vcc_lo, v10, v9
	v_add_co_ci_u32_e32 v9, vcc_lo, v11, v13, vcc_lo
	v_add_co_ci_u32_e32 v10, vcc_lo, 0, v14, vcc_lo
	v_add_co_u32 v6, vcc_lo, v9, v6
	v_add_co_ci_u32_e32 v9, vcc_lo, 0, v10, vcc_lo
	v_add_co_u32 v4, vcc_lo, v4, v6
	v_add_co_ci_u32_e32 v5, vcc_lo, v5, v9, vcc_lo
	v_mul_hi_u32 v6, s0, v4
	v_mul_lo_u32 v10, s26, v4
	v_mul_lo_u32 v9, s0, v5
	v_add_nc_u32_e32 v6, v6, v9
	v_mul_lo_u32 v9, s0, v4
	v_add_nc_u32_e32 v6, v6, v10
	v_mul_hi_u32 v10, v4, v9
	v_mul_lo_u32 v11, v4, v6
	v_mul_hi_u32 v12, v4, v6
	v_mul_hi_u32 v13, v5, v9
	v_mul_lo_u32 v9, v5, v9
	v_mul_hi_u32 v14, v5, v6
	v_mul_lo_u32 v6, v5, v6
	v_add_co_u32 v10, vcc_lo, v10, v11
	v_add_co_ci_u32_e32 v11, vcc_lo, 0, v12, vcc_lo
	v_add_co_u32 v9, vcc_lo, v10, v9
	v_add_co_ci_u32_e32 v9, vcc_lo, v11, v13, vcc_lo
	v_add_co_ci_u32_e32 v10, vcc_lo, 0, v14, vcc_lo
	v_add_co_u32 v6, vcc_lo, v9, v6
	v_add_co_ci_u32_e32 v9, vcc_lo, 0, v10, vcc_lo
	v_add_co_u32 v6, vcc_lo, v4, v6
	v_add_co_ci_u32_e32 v11, vcc_lo, v5, v9, vcc_lo
	v_mul_hi_u32 v13, v7, v6
	v_mad_u64_u32 v[9:10], null, v8, v6, 0
	v_mad_u64_u32 v[4:5], null, v7, v11, 0
	;; [unrolled: 1-line block ×3, first 2 shown]
	v_add_co_u32 v4, vcc_lo, v13, v4
	v_add_co_ci_u32_e32 v5, vcc_lo, 0, v5, vcc_lo
	v_add_co_u32 v4, vcc_lo, v4, v9
	v_add_co_ci_u32_e32 v4, vcc_lo, v5, v10, vcc_lo
	v_add_co_ci_u32_e32 v5, vcc_lo, 0, v12, vcc_lo
	v_add_co_u32 v9, vcc_lo, v4, v11
	v_add_co_ci_u32_e32 v6, vcc_lo, 0, v5, vcc_lo
	v_mul_lo_u32 v10, s25, v9
	v_mad_u64_u32 v[4:5], null, s24, v9, 0
	v_mul_lo_u32 v11, s24, v6
	v_sub_co_u32 v4, vcc_lo, v7, v4
	v_add3_u32 v5, v5, v11, v10
	v_sub_nc_u32_e32 v10, v8, v5
	v_subrev_co_ci_u32_e64 v10, s0, s25, v10, vcc_lo
	v_add_co_u32 v11, s0, v9, 2
	v_add_co_ci_u32_e64 v12, s0, 0, v6, s0
	v_sub_co_u32 v13, s0, v4, s24
	v_sub_co_ci_u32_e32 v5, vcc_lo, v8, v5, vcc_lo
	v_subrev_co_ci_u32_e64 v10, s0, 0, v10, s0
	v_cmp_le_u32_e32 vcc_lo, s24, v13
	v_cmp_eq_u32_e64 s0, s25, v5
	v_cndmask_b32_e64 v13, 0, -1, vcc_lo
	v_cmp_le_u32_e32 vcc_lo, s25, v10
	v_cndmask_b32_e64 v14, 0, -1, vcc_lo
	v_cmp_le_u32_e32 vcc_lo, s24, v4
	;; [unrolled: 2-line block ×3, first 2 shown]
	v_cndmask_b32_e64 v15, 0, -1, vcc_lo
	v_cmp_eq_u32_e32 vcc_lo, s25, v10
	v_cndmask_b32_e64 v4, v15, v4, s0
	v_cndmask_b32_e32 v10, v14, v13, vcc_lo
	v_add_co_u32 v13, vcc_lo, v9, 1
	v_add_co_ci_u32_e32 v14, vcc_lo, 0, v6, vcc_lo
	v_cmp_ne_u32_e32 vcc_lo, 0, v10
	v_cndmask_b32_e32 v5, v14, v12, vcc_lo
	v_cndmask_b32_e32 v10, v13, v11, vcc_lo
	v_cmp_ne_u32_e32 vcc_lo, 0, v4
	v_cndmask_b32_e32 v6, v6, v5, vcc_lo
	v_cndmask_b32_e32 v5, v9, v10, vcc_lo
.LBB0_4:                                ;   in Loop: Header=BB0_2 Depth=1
	s_andn2_saveexec_b32 s0, s1
	s_cbranch_execz .LBB0_6
; %bb.5:                                ;   in Loop: Header=BB0_2 Depth=1
	v_cvt_f32_u32_e32 v4, s24
	s_sub_i32 s1, 0, s24
	v_rcp_iflag_f32_e32 v4, v4
	v_mul_f32_e32 v4, 0x4f7ffffe, v4
	v_cvt_u32_f32_e32 v4, v4
	v_mul_lo_u32 v5, s1, v4
	v_mul_hi_u32 v5, v4, v5
	v_add_nc_u32_e32 v4, v4, v5
	v_mul_hi_u32 v4, v7, v4
	v_mul_lo_u32 v5, v4, s24
	v_add_nc_u32_e32 v6, 1, v4
	v_sub_nc_u32_e32 v5, v7, v5
	v_subrev_nc_u32_e32 v9, s24, v5
	v_cmp_le_u32_e32 vcc_lo, s24, v5
	v_cndmask_b32_e32 v5, v5, v9, vcc_lo
	v_cndmask_b32_e32 v4, v4, v6, vcc_lo
	v_cmp_le_u32_e32 vcc_lo, s24, v5
	v_add_nc_u32_e32 v6, 1, v4
	v_cndmask_b32_e32 v5, v4, v6, vcc_lo
	v_mov_b32_e32 v6, v3
.LBB0_6:                                ;   in Loop: Header=BB0_2 Depth=1
	s_or_b32 exec_lo, exec_lo, s0
	v_mul_lo_u32 v4, v6, s24
	v_mul_lo_u32 v11, v5, s25
	s_load_dwordx2 s[0:1], s[6:7], 0x0
	v_mad_u64_u32 v[9:10], null, v5, s24, 0
	s_load_dwordx2 s[24:25], s[2:3], 0x0
	s_add_u32 s22, s22, 1
	s_addc_u32 s23, s23, 0
	s_add_u32 s2, s2, 8
	s_addc_u32 s3, s3, 0
	s_add_u32 s6, s6, 8
	v_add3_u32 v4, v10, v11, v4
	v_sub_co_u32 v7, vcc_lo, v7, v9
	s_addc_u32 s7, s7, 0
	s_add_u32 s20, s20, 8
	v_sub_co_ci_u32_e32 v4, vcc_lo, v8, v4, vcc_lo
	s_addc_u32 s21, s21, 0
	s_waitcnt lgkmcnt(0)
	v_mul_lo_u32 v8, s0, v4
	v_mul_lo_u32 v9, s1, v7
	v_mad_u64_u32 v[60:61], null, s0, v7, v[60:61]
	v_mul_lo_u32 v4, s24, v4
	v_mul_lo_u32 v10, s25, v7
	v_mad_u64_u32 v[1:2], null, s24, v7, v[1:2]
	v_cmp_ge_u64_e64 s0, s[22:23], s[14:15]
	v_add3_u32 v61, v9, v61, v8
	v_add3_u32 v2, v10, v2, v4
	s_and_b32 vcc_lo, exec_lo, s0
	s_cbranch_vccnz .LBB0_8
; %bb.7:                                ;   in Loop: Header=BB0_2 Depth=1
	v_mov_b32_e32 v8, v6
	v_mov_b32_e32 v7, v5
	s_branch .LBB0_2
.LBB0_8:
	s_load_dwordx2 s[0:1], s[4:5], 0x28
	v_mul_hi_u32 v4, 0x6906907, v0
	s_lshl_b64 s[4:5], s[14:15], 3
                                        ; implicit-def: $sgpr6
                                        ; implicit-def: $vgpr3
	s_add_u32 s2, s18, s4
	s_addc_u32 s3, s19, s5
	s_waitcnt lgkmcnt(0)
	v_cmp_gt_u64_e32 vcc_lo, s[0:1], v[5:6]
	v_cmp_le_u64_e64 s0, s[0:1], v[5:6]
	s_and_saveexec_b32 s1, s0
	s_xor_b32 s0, exec_lo, s1
; %bb.9:
	v_mul_u32_u24_e32 v3, 39, v4
	s_mov_b32 s6, 0
                                        ; implicit-def: $vgpr4
                                        ; implicit-def: $vgpr60_vgpr61
	v_sub_nc_u32_e32 v3, v0, v3
                                        ; implicit-def: $vgpr0
; %bb.10:
	s_or_saveexec_b32 s1, s0
	s_load_dwordx2 s[2:3], s[2:3], 0x0
	v_mov_b32_e32 v8, s6
	v_mov_b32_e32 v7, s6
                                        ; implicit-def: $vgpr51
                                        ; implicit-def: $vgpr59
                                        ; implicit-def: $vgpr57
                                        ; implicit-def: $vgpr46
                                        ; implicit-def: $vgpr42
                                        ; implicit-def: $vgpr38
                                        ; implicit-def: $vgpr34
                                        ; implicit-def: $vgpr36
                                        ; implicit-def: $vgpr40
                                        ; implicit-def: $vgpr44
                                        ; implicit-def: $vgpr48
                                        ; implicit-def: $vgpr55
                                        ; implicit-def: $vgpr53
                                        ; implicit-def: $vgpr32
                                        ; implicit-def: $vgpr26
                                        ; implicit-def: $vgpr22
                                        ; implicit-def: $vgpr16
                                        ; implicit-def: $vgpr14
                                        ; implicit-def: $vgpr10
                                        ; implicit-def: $vgpr18
                                        ; implicit-def: $vgpr20
                                        ; implicit-def: $vgpr24
                                        ; implicit-def: $vgpr30
                                        ; implicit-def: $vgpr28
                                        ; implicit-def: $vgpr12
	s_xor_b32 exec_lo, exec_lo, s1
	s_cbranch_execz .LBB0_14
; %bb.11:
	s_add_u32 s4, s16, s4
	s_addc_u32 s5, s17, s5
                                        ; implicit-def: $vgpr11
                                        ; implicit-def: $vgpr27
                                        ; implicit-def: $vgpr29
                                        ; implicit-def: $vgpr23
                                        ; implicit-def: $vgpr19
                                        ; implicit-def: $vgpr17
                                        ; implicit-def: $vgpr13
                                        ; implicit-def: $vgpr15
                                        ; implicit-def: $vgpr21
                                        ; implicit-def: $vgpr25
                                        ; implicit-def: $vgpr31
	s_load_dwordx2 s[4:5], s[4:5], 0x0
	s_waitcnt lgkmcnt(0)
	v_mul_lo_u32 v3, s5, v5
	v_mul_lo_u32 v9, s4, v6
	v_mad_u64_u32 v[7:8], null, s4, v5, 0
	s_mov_b32 s4, exec_lo
	v_add3_u32 v8, v8, v9, v3
	v_mul_u32_u24_e32 v3, 39, v4
	v_lshlrev_b64 v[9:10], 3, v[60:61]
	v_lshlrev_b64 v[7:8], 3, v[7:8]
	v_sub_nc_u32_e32 v3, v0, v3
	v_add_co_u32 v0, s0, s8, v7
	v_add_co_ci_u32_e64 v4, s0, s9, v8, s0
	v_lshlrev_b32_e32 v7, 3, v3
	v_add_co_u32 v0, s0, v0, v9
	v_add_co_ci_u32_e64 v4, s0, v4, v10, s0
	v_mov_b32_e32 v8, 0
	v_add_co_u32 v60, s0, v0, v7
	v_add_co_ci_u32_e64 v61, s0, 0, v4, s0
	v_mov_b32_e32 v7, 0
	v_add_co_u32 v62, s0, 0x800, v60
	v_add_co_ci_u32_e64 v63, s0, 0, v61, s0
	s_clause 0xc
	global_load_dwordx2 v[50:51], v[60:61], off
	global_load_dwordx2 v[58:59], v[60:61], off offset:336
	global_load_dwordx2 v[56:57], v[60:61], off offset:672
	;; [unrolled: 1-line block ×12, first 2 shown]
                                        ; implicit-def: $vgpr9
	v_cmpx_gt_u32_e32 3, v3
; %bb.12:
	s_clause 0x7
	global_load_dwordx2 v[7:8], v[60:61], off offset:312
	global_load_dwordx2 v[31:32], v[60:61], off offset:648
	global_load_dwordx2 v[25:26], v[60:61], off offset:984
	global_load_dwordx2 v[21:22], v[60:61], off offset:1320
	global_load_dwordx2 v[15:16], v[60:61], off offset:1656
	global_load_dwordx2 v[13:14], v[60:61], off offset:1992
	global_load_dwordx2 v[9:10], v[62:63], off offset:280
	global_load_dwordx2 v[11:12], v[62:63], off offset:616
	v_add_co_u32 v17, s0, 0x1000, v60
	v_add_co_ci_u32_e64 v18, s0, 0, v61, s0
	s_clause 0x4
	global_load_dwordx2 v[27:28], v[62:63], off offset:952
	global_load_dwordx2 v[29:30], v[62:63], off offset:1288
	global_load_dwordx2 v[23:24], v[62:63], off offset:1624
	global_load_dwordx2 v[19:20], v[62:63], off offset:1960
	global_load_dwordx2 v[17:18], v[17:18], off offset:248
; %bb.13:
	s_or_b32 exec_lo, exec_lo, s4
.LBB0_14:
	s_or_b32 exec_lo, exec_lo, s1
	s_waitcnt vmcnt(11)
	v_add_f32_e32 v0, v50, v58
	s_waitcnt vmcnt(0)
	v_sub_f32_e32 v60, v59, v53
	v_add_f32_e32 v61, v58, v52
	v_sub_f32_e32 v62, v57, v55
	v_mul_hi_u32 v4, 0xaaaaaaab, v49
	v_add_f32_e32 v0, v0, v56
	v_mul_f32_e32 v73, 0xbeedf032, v60
	v_add_f32_e32 v63, v56, v54
	v_sub_f32_e32 v64, v46, v48
	v_mul_f32_e32 v74, 0xbf52af12, v62
	v_add_f32_e32 v0, v0, v45
	v_fmamk_f32 v72, v61, 0x3f62ad3f, v73
	v_add_f32_e32 v65, v45, v47
	v_sub_f32_e32 v66, v42, v44
	v_mul_f32_e32 v75, 0xbf7e222b, v64
	v_add_f32_e32 v0, v0, v41
	v_fmamk_f32 v77, v63, 0x3f116cb1, v74
	v_add_f32_e32 v72, v72, v50
	v_lshrrev_b32_e32 v4, 1, v4
	v_add_f32_e32 v68, v41, v43
	v_add_f32_e32 v0, v0, v37
	v_sub_f32_e32 v67, v38, v40
	v_mul_f32_e32 v80, 0xbf6f5d39, v66
	v_fmamk_f32 v83, v65, 0x3df6dbef, v75
	v_add_f32_e32 v72, v77, v72
	v_add_f32_e32 v0, v0, v33
	v_lshl_add_u32 v4, v4, 1, v4
	v_add_f32_e32 v71, v37, v39
	v_mul_f32_e32 v81, 0xbf29c268, v67
	v_mul_f32_e32 v76, 0xbf52af12, v60
	v_add_f32_e32 v0, v0, v35
	v_mul_f32_e32 v77, 0xbf7e222b, v60
	v_fmamk_f32 v84, v68, 0xbeb58ec6, v80
	v_add_f32_e32 v72, v83, v72
	v_sub_nc_u32_e32 v4, v49, v4
	v_add_f32_e32 v0, v0, v39
	v_sub_f32_e32 v69, v34, v36
	v_mul_f32_e32 v78, 0xbf6f5d39, v62
	v_mul_f32_e32 v83, 0xbe750f2a, v62
	v_fmamk_f32 v85, v71, 0xbf3f9e67, v81
	v_add_f32_e32 v0, v0, v43
	v_add_f32_e32 v49, v84, v72
	v_fmamk_f32 v87, v61, 0x3df6dbef, v77
	v_add_f32_e32 v79, v33, v35
	v_mad_u32_u24 v70, v3, 52, 0
	v_add_f32_e32 v72, v0, v47
	v_mul_u32_u24_e32 v0, 0x222, v4
	v_fmamk_f32 v4, v61, 0x3f116cb1, v76
	v_mul_f32_e32 v82, 0xbe750f2a, v69
	v_mul_f32_e32 v84, 0xbe750f2a, v64
	v_add_f32_e32 v49, v85, v49
	v_fmamk_f32 v85, v63, 0xbeb58ec6, v78
	v_fmamk_f32 v88, v63, 0xbf788fa5, v83
	v_add_f32_e32 v4, v4, v50
	v_add_f32_e32 v87, v87, v50
	v_mul_f32_e32 v90, 0x3f6f5d39, v64
	v_fmamk_f32 v86, v79, 0xbf788fa5, v82
	v_add_f32_e32 v89, v72, v54
	v_lshl_add_u32 v72, v0, 2, v70
	v_add_f32_e32 v4, v85, v4
	v_add_f32_e32 v70, v88, v87
	v_fmamk_f32 v85, v65, 0xbf788fa5, v84
	v_fmamk_f32 v87, v65, 0xbeb58ec6, v90
	v_mul_f32_e32 v88, 0x3f29c268, v66
	v_mul_f32_e32 v91, 0x3eedf032, v66
	v_add_f32_e32 v49, v86, v49
	v_add_f32_e32 v4, v85, v4
	;; [unrolled: 1-line block ×3, first 2 shown]
	v_fmamk_f32 v85, v68, 0xbf3f9e67, v88
	v_fmamk_f32 v86, v68, 0x3f62ad3f, v91
	v_mul_f32_e32 v87, 0x3f7e222b, v67
	v_mul_f32_e32 v92, 0xbf52af12, v67
	;; [unrolled: 1-line block ×3, first 2 shown]
	v_add_f32_e32 v4, v85, v4
	v_add_f32_e32 v70, v86, v70
	v_fmamk_f32 v85, v71, 0x3df6dbef, v87
	v_fmamk_f32 v86, v71, 0x3f116cb1, v92
	v_add_f32_e32 v89, v89, v52
	v_mul_f32_e32 v98, 0x3eedf032, v64
	v_mul_f32_e32 v94, 0x3f7e222b, v62
	v_add_f32_e32 v4, v85, v4
	v_add_f32_e32 v70, v86, v70
	v_fmamk_f32 v85, v61, 0xbeb58ec6, v93
	v_mul_f32_e32 v86, 0x3f29c268, v62
	ds_write2_b32 v72, v89, v49 offset1:1
	v_mul_f32_e32 v49, 0xbf29c268, v60
	v_mul_f32_e32 v101, 0xbf7e222b, v66
	v_add_f32_e32 v85, v85, v50
	v_fmamk_f32 v96, v63, 0xbf3f9e67, v86
	v_fmamk_f32 v97, v63, 0x3df6dbef, v94
	;; [unrolled: 1-line block ×3, first 2 shown]
	v_mul_f32_e32 v99, 0xbf52af12, v64
	v_mul_f32_e32 v104, 0x3e750f2a, v67
	v_add_f32_e32 v85, v96, v85
	v_fmamk_f32 v96, v65, 0x3f62ad3f, v98
	v_add_f32_e32 v89, v89, v50
	v_mul_f32_e32 v102, 0x3e750f2a, v66
	v_mul_f32_e32 v103, 0xbf29c268, v69
	;; [unrolled: 1-line block ×3, first 2 shown]
	v_add_f32_e32 v85, v96, v85
	v_fmamk_f32 v96, v68, 0x3df6dbef, v101
	v_add_f32_e32 v89, v97, v89
	v_fmamk_f32 v97, v65, 0x3f116cb1, v99
	v_mul_f32_e32 v95, 0x3eedf032, v69
	v_mul_f32_e32 v105, 0x3eedf032, v67
	v_add_f32_e32 v85, v96, v85
	v_fmamk_f32 v96, v71, 0xbf788fa5, v104
	v_add_f32_e32 v89, v97, v89
	v_fmamk_f32 v97, v68, 0xbf788fa5, v102
	v_fmamk_f32 v106, v79, 0xbf3f9e67, v103
	v_mul_f32_e32 v62, 0x3eedf032, v62
	v_add_f32_e32 v85, v96, v85
	v_fmamk_f32 v96, v61, 0xbf788fa5, v60
	v_fma_f32 v60, 0xbf788fa5, v61, -v60
	v_fmamk_f32 v100, v79, 0x3f62ad3f, v95
	v_add_f32_e32 v89, v97, v89
	v_fmamk_f32 v97, v71, 0x3f62ad3f, v105
	v_add_f32_e32 v70, v106, v70
	v_add_f32_e32 v96, v96, v50
	v_fmamk_f32 v106, v63, 0x3f62ad3f, v62
	v_add_f32_e32 v60, v60, v50
	v_fma_f32 v62, 0x3f62ad3f, v63, -v62
	v_mul_f32_e32 v64, 0xbf29c268, v64
	v_add_f32_e32 v4, v100, v4
	v_add_f32_e32 v89, v97, v89
	v_mul_f32_e32 v97, 0x3f52af12, v69
	v_mul_f32_e32 v100, 0xbf6f5d39, v69
	v_add_f32_e32 v96, v106, v96
	v_add_f32_e32 v60, v62, v60
	v_fmamk_f32 v62, v65, 0xbf3f9e67, v64
	v_fma_f32 v64, 0xbf3f9e67, v65, -v64
	v_mul_f32_e32 v66, 0x3f52af12, v66
	v_fmamk_f32 v107, v79, 0x3f116cb1, v97
	v_fmamk_f32 v108, v79, 0xbeb58ec6, v100
	v_add_f32_e32 v62, v62, v96
	v_add_f32_e32 v60, v64, v60
	v_fmamk_f32 v64, v68, 0x3f116cb1, v66
	v_mul_f32_e32 v67, 0xbf6f5d39, v67
	v_fma_f32 v66, 0x3f116cb1, v68, -v66
	v_add_f32_e32 v85, v107, v85
	v_add_f32_e32 v89, v108, v89
	ds_write2_b32 v72, v4, v70 offset0:2 offset1:3
	ds_write2_b32 v72, v85, v89 offset0:4 offset1:5
	v_add_f32_e32 v4, v64, v62
	v_fmamk_f32 v62, v71, 0xbeb58ec6, v67
	v_add_f32_e32 v60, v66, v60
	v_fma_f32 v64, 0xbeb58ec6, v71, -v67
	v_mul_f32_e32 v66, 0x3f7e222b, v69
	v_fma_f32 v67, 0xbeb58ec6, v61, -v93
	v_add_f32_e32 v4, v62, v4
	v_fma_f32 v49, 0xbf3f9e67, v61, -v49
	v_add_f32_e32 v60, v64, v60
	v_fmamk_f32 v62, v79, 0x3df6dbef, v66
	v_add_f32_e32 v64, v67, v50
	v_fma_f32 v67, 0xbf3f9e67, v63, -v86
	v_add_f32_e32 v49, v49, v50
	v_fma_f32 v69, 0x3df6dbef, v63, -v94
	;; [unrolled: 2-line block ×8, first 2 shown]
	v_fma_f32 v66, 0x3df6dbef, v61, -v77
	v_add_f32_e32 v4, v60, v4
	v_fma_f32 v60, 0xbf788fa5, v68, -v102
	v_add_f32_e32 v62, v67, v50
	;; [unrolled: 2-line block ×5, first 2 shown]
	v_add_f32_e32 v64, v66, v50
	v_fma_f32 v66, 0xbf788fa5, v63, -v83
	v_add_f32_e32 v4, v67, v4
	v_add_f32_e32 v49, v60, v49
	v_fma_f32 v60, 0x3f116cb1, v79, -v97
	v_add_f32_e32 v70, v70, v25
	v_add_f32_e32 v64, v66, v64
	v_add_f32_e32 v62, v69, v62
	v_fma_f32 v66, 0xbeb58ec6, v65, -v90
	v_fma_f32 v67, 0xbf3f9e67, v68, -v88
	v_add_f32_e32 v83, v60, v4
	v_add_f32_e32 v60, v70, v21
	v_fma_f32 v69, 0xbeb58ec6, v79, -v100
	v_add_f32_e32 v64, v66, v64
	v_add_f32_e32 v62, v67, v62
	v_fma_f32 v66, 0x3f62ad3f, v68, -v91
	v_fma_f32 v67, 0x3df6dbef, v71, -v87
	;; [unrolled: 1-line block ×3, first 2 shown]
	v_add_f32_e32 v60, v60, v15
	v_add_f32_e32 v76, v31, v17
	;; [unrolled: 1-line block ×5, first 2 shown]
	v_fma_f32 v62, 0x3f116cb1, v71, -v92
	v_fma_f32 v63, 0x3f116cb1, v63, -v74
	v_add_f32_e32 v50, v61, v50
	v_add_f32_e32 v61, v60, v13
	v_sub_f32_e32 v67, v32, v18
	v_mul_f32_e32 v60, 0x3f62ad3f, v76
	v_add_f32_e32 v77, v25, v19
	v_add_f32_e32 v4, v62, v4
	v_add_f32_e32 v50, v63, v50
	v_fma_f32 v63, 0x3df6dbef, v65, -v75
	v_add_f32_e32 v64, v61, v9
	v_fmamk_f32 v65, v67, 0xbeedf032, v60
	v_sub_f32_e32 v62, v26, v20
	v_mul_f32_e32 v61, 0x3f116cb1, v77
	v_add_f32_e32 v78, v21, v23
	v_add_f32_e32 v50, v63, v50
	;; [unrolled: 1-line block ×4, first 2 shown]
	v_fmamk_f32 v69, v62, 0xbf52af12, v61
	v_sub_f32_e32 v64, v22, v24
	v_mul_f32_e32 v63, 0x3df6dbef, v78
	v_add_f32_e32 v74, v15, v29
	v_fma_f32 v68, 0xbeb58ec6, v68, -v80
	v_add_f32_e32 v73, v27, v66
	v_add_f32_e32 v69, v65, v69
	v_fmamk_f32 v75, v64, 0xbf7e222b, v63
	v_sub_f32_e32 v66, v16, v30
	v_mul_f32_e32 v65, 0xbeb58ec6, v74
	v_add_f32_e32 v70, v13, v27
	v_add_f32_e32 v50, v68, v50
	;; [unrolled: 1-line block ×4, first 2 shown]
	v_fmamk_f32 v89, v66, 0xbf6f5d39, v65
	v_sub_f32_e32 v69, v14, v28
	v_mul_f32_e32 v68, 0xbf3f9e67, v70
	v_add_f32_e32 v75, v9, v11
	v_fma_f32 v81, 0xbf3f9e67, v71, -v81
	v_add_f32_e32 v90, v23, v73
	v_add_f32_e32 v80, v80, v89
	v_fmamk_f32 v89, v69, 0xbf29c268, v68
	v_sub_f32_e32 v73, v10, v12
	v_mul_f32_e32 v71, 0xbf788fa5, v75
	v_fma_f32 v87, 0x3f62ad3f, v79, -v95
	v_fma_f32 v88, 0xbf3f9e67, v79, -v103
	v_add_f32_e32 v50, v81, v50
	v_fma_f32 v79, 0xbf788fa5, v79, -v82
	v_add_f32_e32 v81, v19, v90
	v_add_f32_e32 v80, v80, v89
	v_fmamk_f32 v82, v73, 0xbe750f2a, v71
	v_add_f32_e32 v87, v87, v49
	v_add_f32_e32 v88, v88, v4
	;; [unrolled: 1-line block ×5, first 2 shown]
	v_cmp_gt_u32_e64 s1, 3, v3
	ds_write2_b32 v72, v85, v86 offset0:6 offset1:7
	ds_write2_b32 v72, v84, v83 offset0:8 offset1:9
	ds_write2_b32 v72, v88, v87 offset0:10 offset1:11
	ds_write_b32 v72, v49 offset:48
	s_and_saveexec_b32 s0, s1
	s_cbranch_execz .LBB0_16
; %bb.15:
	v_mul_f32_e32 v79, 0xbf788fa5, v76
	v_mul_f32_e32 v83, 0x3f62ad3f, v77
	;; [unrolled: 1-line block ×5, first 2 shown]
	v_fmamk_f32 v84, v67, 0x3e750f2a, v79
	v_fmamk_f32 v88, v62, 0xbeedf032, v83
	;; [unrolled: 1-line block ×3, first 2 shown]
	v_fmac_f32_e32 v79, 0xbe750f2a, v67
	v_fmamk_f32 v92, v66, 0xbf52af12, v90
	v_add_f32_e32 v84, v7, v84
	v_fmac_f32_e32 v83, 0x3eedf032, v62
	v_fmac_f32_e32 v87, 0xbf29c268, v64
	v_add_f32_e32 v79, v7, v79
	v_fmac_f32_e32 v90, 0x3f52af12, v66
	v_add_f32_e32 v84, v84, v88
	v_mul_f32_e32 v88, 0xbeb58ec6, v70
	v_mul_f32_e32 v97, 0x3f62ad3f, v78
	v_add_f32_e32 v79, v79, v83
	v_mul_f32_e32 v99, 0xbeb58ec6, v78
	v_add_f32_e32 v84, v84, v91
	v_mul_f32_e32 v91, 0xbf3f9e67, v76
	v_fmamk_f32 v93, v69, 0x3f6f5d39, v88
	v_add_f32_e32 v79, v79, v87
	v_fmac_f32_e32 v88, 0xbf6f5d39, v69
	v_add_f32_e32 v83, v84, v92
	v_fmamk_f32 v92, v67, 0x3f29c268, v91
	v_mul_f32_e32 v84, 0x3df6dbef, v75
	v_add_f32_e32 v79, v79, v90
	v_fmac_f32_e32 v91, 0xbf29c268, v67
	v_add_f32_e32 v83, v83, v93
	v_add_f32_e32 v87, v7, v92
	v_fmamk_f32 v92, v62, 0xbf7e222b, v94
	v_mul_f32_e32 v93, 0x3f116cb1, v78
	v_fmamk_f32 v95, v73, 0xbf7e222b, v84
	v_add_f32_e32 v79, v79, v88
	v_fmac_f32_e32 v84, 0x3f7e222b, v73
	v_add_f32_e32 v87, v87, v92
	v_fmamk_f32 v90, v64, 0x3f52af12, v93
	v_mul_f32_e32 v92, 0xbf788fa5, v74
	v_add_f32_e32 v91, v7, v91
	v_fmac_f32_e32 v94, 0x3f7e222b, v62
	v_add_f32_e32 v79, v79, v84
	v_add_f32_e32 v87, v87, v90
	v_fmamk_f32 v88, v66, 0xbe750f2a, v92
	v_mul_f32_e32 v90, 0x3f62ad3f, v70
	v_mul_f32_e32 v84, 0xbeb58ec6, v76
	v_add_f32_e32 v83, v83, v95
	v_add_f32_e32 v91, v91, v94
	v_add_f32_e32 v87, v87, v88
	v_fmamk_f32 v88, v69, 0xbeedf032, v90
	v_fmac_f32_e32 v93, 0xbf52af12, v64
	v_fmamk_f32 v94, v67, 0x3f6f5d39, v84
	v_mul_f32_e32 v95, 0xbf3f9e67, v77
	v_fmac_f32_e32 v92, 0x3e750f2a, v66
	v_add_f32_e32 v87, v87, v88
	v_mul_f32_e32 v88, 0xbeb58ec6, v75
	v_add_f32_e32 v91, v91, v93
	v_add_f32_e32 v94, v7, v94
	v_fmamk_f32 v96, v62, 0xbf29c268, v95
	v_fmac_f32_e32 v90, 0x3eedf032, v69
	v_fmamk_f32 v93, v73, 0x3f6f5d39, v88
	v_add_f32_e32 v91, v91, v92
	v_fmac_f32_e32 v88, 0xbf6f5d39, v73
	v_add_f32_e32 v92, v94, v96
	v_mul_f32_e32 v94, 0x3df6dbef, v74
	v_add_f32_e32 v87, v87, v93
	v_fmamk_f32 v93, v64, 0xbeedf032, v97
	v_add_f32_e32 v90, v91, v90
	v_fmac_f32_e32 v84, 0xbf6f5d39, v67
	v_fmac_f32_e32 v95, 0x3f29c268, v62
	v_fmac_f32_e32 v97, 0x3eedf032, v64
	v_add_f32_e32 v91, v92, v93
	v_fmamk_f32 v92, v66, 0x3f7e222b, v94
	v_mul_f32_e32 v93, 0xbf788fa5, v70
	v_add_f32_e32 v88, v90, v88
	v_add_f32_e32 v84, v7, v84
	v_mul_f32_e32 v96, 0x3f116cb1, v75
	v_add_f32_e32 v90, v91, v92
	v_fmamk_f32 v91, v69, 0xbe750f2a, v93
	v_mul_f32_e32 v92, 0x3df6dbef, v76
	v_add_f32_e32 v84, v84, v95
	v_mul_f32_e32 v95, 0xbf788fa5, v77
	v_fmac_f32_e32 v94, 0xbf7e222b, v66
	v_add_f32_e32 v90, v90, v91
	v_fmamk_f32 v91, v67, 0x3f7e222b, v92
	v_add_f32_e32 v84, v84, v97
	v_fmamk_f32 v97, v62, 0x3e750f2a, v95
	v_fmamk_f32 v98, v73, 0xbf52af12, v96
	v_fmac_f32_e32 v92, 0xbf7e222b, v67
	v_add_f32_e32 v91, v7, v91
	v_add_f32_e32 v84, v84, v94
	v_fmamk_f32 v94, v64, 0xbf6f5d39, v99
	v_add_f32_e32 v90, v90, v98
	v_fmac_f32_e32 v93, 0x3e750f2a, v69
	v_add_f32_e32 v91, v91, v97
	v_mul_f32_e32 v97, 0x3f62ad3f, v74
	v_mul_f32_e32 v98, 0x3f116cb1, v70
	v_add_f32_e32 v92, v7, v92
	v_fmac_f32_e32 v95, 0xbe750f2a, v62
	v_add_f32_e32 v91, v91, v94
	v_fmamk_f32 v94, v66, 0xbeedf032, v97
	v_add_f32_e32 v84, v84, v93
	v_fmamk_f32 v93, v69, 0x3f52af12, v98
	v_mul_f32_e32 v76, 0x3f116cb1, v76
	v_mul_f32_e32 v80, 0xbeedf032, v67
	v_add_f32_e32 v91, v91, v94
	v_mul_f32_e32 v94, 0xbf3f9e67, v75
	v_add_f32_e32 v92, v92, v95
	v_fmamk_f32 v95, v67, 0x3f52af12, v76
	v_mul_f32_e32 v77, 0xbeb58ec6, v77
	v_add_f32_e32 v91, v91, v93
	v_fmamk_f32 v93, v73, 0x3f29c268, v94
	v_mul_f32_e32 v81, 0xbf52af12, v62
	v_mul_f32_e32 v78, 0xbf788fa5, v78
	v_fmac_f32_e32 v76, 0xbf52af12, v67
	v_sub_f32_e32 v60, v60, v80
	v_add_f32_e32 v91, v91, v93
	v_add_f32_e32 v93, v7, v95
	v_fmamk_f32 v95, v62, 0x3f6f5d39, v77
	v_mul_f32_e32 v82, 0xbf7e222b, v64
	v_fmamk_f32 v80, v64, 0x3e750f2a, v78
	v_mul_f32_e32 v74, 0xbf3f9e67, v74
	v_add_f32_e32 v76, v7, v76
	v_add_f32_e32 v67, v93, v95
	v_fmac_f32_e32 v77, 0xbf6f5d39, v62
	v_add_f32_e32 v7, v7, v60
	v_sub_f32_e32 v60, v61, v81
	v_mul_f32_e32 v85, 0xbf6f5d39, v66
	v_fmac_f32_e32 v99, 0x3f6f5d39, v64
	v_add_f32_e32 v61, v67, v80
	v_fmamk_f32 v62, v66, 0xbf29c268, v74
	v_add_f32_e32 v67, v76, v77
	v_fmac_f32_e32 v78, 0xbe750f2a, v64
	v_add_f32_e32 v7, v7, v60
	v_sub_f32_e32 v60, v63, v82
	v_mul_f32_e32 v86, 0xbf29c268, v69
	v_add_f32_e32 v92, v92, v99
	v_fmac_f32_e32 v97, 0x3eedf032, v66
	v_add_f32_e32 v61, v61, v62
	v_mul_f32_e32 v62, 0x3df6dbef, v70
	v_add_f32_e32 v63, v67, v78
	v_fmac_f32_e32 v74, 0x3f29c268, v66
	v_add_f32_e32 v7, v7, v60
	v_sub_f32_e32 v60, v65, v85
	v_mul_f32_e32 v89, 0xbe750f2a, v73
	v_add_f32_e32 v92, v92, v97
	v_fmac_f32_e32 v98, 0xbf52af12, v69
	v_fmamk_f32 v64, v69, 0xbf7e222b, v62
	v_mul_f32_e32 v65, 0x3f62ad3f, v75
	v_add_f32_e32 v63, v63, v74
	v_fmac_f32_e32 v62, 0x3f7e222b, v69
	v_add_f32_e32 v7, v7, v60
	v_sub_f32_e32 v60, v68, v86
	v_add_f32_e32 v92, v92, v98
	v_fmac_f32_e32 v94, 0xbf29c268, v73
	v_add_f32_e32 v61, v61, v64
	v_fmamk_f32 v64, v73, 0xbeedf032, v65
	v_add_f32_e32 v62, v63, v62
	v_fmac_f32_e32 v65, 0x3eedf032, v73
	v_add_f32_e32 v7, v7, v60
	v_sub_f32_e32 v60, v71, v89
	v_fmac_f32_e32 v96, 0x3f52af12, v73
	v_add_nc_u32_e32 v63, 0x7ec, v72
	v_add_f32_e32 v66, v92, v94
	v_add_f32_e32 v62, v62, v65
	;; [unrolled: 1-line block ×3, first 2 shown]
	v_add_nc_u32_e32 v60, 0x7f4, v72
	v_add_f32_e32 v84, v84, v96
	ds_write2_b32 v63, v50, v4 offset1:1
	v_add_nc_u32_e32 v63, 0x7fc, v72
	v_add_f32_e32 v61, v61, v64
	v_add_nc_u32_e32 v64, 0x804, v72
	v_add_nc_u32_e32 v65, 0x80c, v72
	;; [unrolled: 1-line block ×3, first 2 shown]
	ds_write2_b32 v60, v62, v66 offset1:1
	ds_write2_b32 v63, v84, v88 offset1:1
	;; [unrolled: 1-line block ×5, first 2 shown]
	ds_write_b32 v72, v7 offset:2076
.LBB0_16:
	s_or_b32 exec_lo, exec_lo, s0
	v_lshlrev_b32_e32 v71, 2, v0
	v_lshlrev_b32_e32 v60, 2, v3
	s_waitcnt lgkmcnt(0)
	s_barrier
	buffer_gl0_inv
	v_cmp_gt_u32_e64 s0, 26, v3
	v_add3_u32 v0, 0, v60, v71
	v_add3_u32 v70, 0, v71, v60
	v_add_nc_u32_e32 v66, 0x400, v0
	v_add_nc_u32_e32 v7, 0x200, v0
	ds_read2_b32 v[60:61], v0 offset0:117 offset1:182
	ds_read2_b32 v[62:63], v0 offset0:39 offset1:78
	;; [unrolled: 1-line block ×5, first 2 shown]
	ds_read_b32 v73, v70
	ds_read_b32 v74, v0 offset:1924
	s_and_saveexec_b32 s4, s0
	s_cbranch_execz .LBB0_18
; %bb.17:
	ds_read2_b32 v[49:50], v7 offset0:28 offset1:210
	ds_read_b32 v4, v0 offset:2080
.LBB0_18:
	s_or_b32 exec_lo, exec_lo, s4
	v_add_f32_e32 v7, v51, v59
	v_sub_f32_e32 v52, v58, v52
	v_add_f32_e32 v58, v59, v53
	v_sub_f32_e32 v54, v56, v54
	v_add_f32_e32 v59, v57, v55
	v_add_f32_e32 v7, v7, v57
	v_mul_f32_e32 v56, 0xbeedf032, v52
	v_mul_f32_e32 v57, 0xbf52af12, v52
	;; [unrolled: 1-line block ×4, first 2 shown]
	v_add_f32_e32 v7, v7, v46
	v_mul_f32_e32 v77, 0xbf29c268, v52
	v_mul_f32_e32 v52, 0xbe750f2a, v52
	;; [unrolled: 1-line block ×3, first 2 shown]
	v_fma_f32 v81, 0x3f62ad3f, v58, -v56
	v_add_f32_e32 v7, v7, v42
	v_fmac_f32_e32 v56, 0x3f62ad3f, v58
	v_mul_f32_e32 v79, 0xbf6f5d39, v54
	v_mul_f32_e32 v80, 0xbe750f2a, v54
	v_fma_f32 v82, 0x3f116cb1, v58, -v57
	v_add_f32_e32 v7, v7, v38
	v_fmac_f32_e32 v57, 0x3f116cb1, v58
	v_fma_f32 v83, 0x3df6dbef, v58, -v75
	v_fmac_f32_e32 v75, 0x3df6dbef, v58
	v_fma_f32 v84, 0xbeb58ec6, v58, -v76
	v_add_f32_e32 v7, v7, v34
	v_fmac_f32_e32 v76, 0xbeb58ec6, v58
	v_fma_f32 v85, 0xbf3f9e67, v58, -v77
	v_fmac_f32_e32 v77, 0xbf3f9e67, v58
	;; [unrolled: 5-line block ×3, first 2 shown]
	v_add_f32_e32 v81, v81, v51
	v_add_f32_e32 v7, v7, v40
	;; [unrolled: 1-line block ×3, first 2 shown]
	v_fma_f32 v87, 0xbeb58ec6, v59, -v79
	v_fmac_f32_e32 v79, 0xbeb58ec6, v59
	v_add_f32_e32 v82, v82, v51
	v_add_f32_e32 v7, v7, v44
	;; [unrolled: 1-line block ×15, first 2 shown]
	v_fma_f32 v58, 0xbf788fa5, v59, -v80
	v_add_f32_e32 v53, v7, v53
	v_mul_f32_e32 v7, 0x3f29c268, v54
	v_fmac_f32_e32 v80, 0xbf788fa5, v59
	v_mul_f32_e32 v78, 0x3f7e222b, v54
	v_sub_f32_e32 v45, v45, v47
	v_add_f32_e32 v57, v79, v57
	v_fma_f32 v79, 0xbf3f9e67, v59, -v7
	v_fmac_f32_e32 v7, 0xbf3f9e67, v59
	v_add_f32_e32 v75, v80, v75
	v_fma_f32 v80, 0x3df6dbef, v59, -v78
	v_mul_f32_e32 v47, 0x3eedf032, v54
	v_fmac_f32_e32 v78, 0x3df6dbef, v59
	v_add_f32_e32 v46, v46, v48
	v_mul_f32_e32 v48, 0xbf7e222b, v45
	v_add_f32_e32 v7, v7, v76
	v_fma_f32 v76, 0x3f62ad3f, v59, -v47
	v_fmac_f32_e32 v47, 0x3f62ad3f, v59
	v_add_f32_e32 v59, v78, v77
	v_mul_f32_e32 v77, 0xbe750f2a, v45
	v_fma_f32 v78, 0x3df6dbef, v46, -v48
	v_add_f32_e32 v56, v87, v82
	v_add_f32_e32 v47, v47, v51
	v_fmac_f32_e32 v48, 0x3df6dbef, v46
	v_fma_f32 v51, 0xbf788fa5, v46, -v77
	v_add_f32_e32 v52, v78, v52
	v_fmac_f32_e32 v77, 0xbf788fa5, v46
	v_mul_f32_e32 v78, 0x3f6f5d39, v45
	v_add_f32_e32 v58, v58, v83
	v_add_f32_e32 v48, v48, v55
	;; [unrolled: 1-line block ×3, first 2 shown]
	v_mul_f32_e32 v55, 0x3eedf032, v45
	v_add_f32_e32 v56, v77, v57
	v_fma_f32 v57, 0xbeb58ec6, v46, -v78
	v_fmac_f32_e32 v78, 0xbeb58ec6, v46
	v_mul_f32_e32 v77, 0xbf52af12, v45
	v_sub_f32_e32 v41, v41, v43
	v_add_f32_e32 v54, v80, v85
	v_fma_f32 v80, 0x3f62ad3f, v46, -v55
	v_fmac_f32_e32 v55, 0x3f62ad3f, v46
	v_add_f32_e32 v57, v57, v58
	v_add_f32_e32 v58, v78, v75
	v_fma_f32 v75, 0x3f116cb1, v46, -v77
	v_mul_f32_e32 v43, 0xbf29c268, v45
	v_fmac_f32_e32 v77, 0x3f116cb1, v46
	v_add_f32_e32 v42, v42, v44
	v_mul_f32_e32 v44, 0xbf6f5d39, v41
	v_add_f32_e32 v7, v55, v7
	v_add_f32_e32 v45, v75, v54
	v_fma_f32 v54, 0xbf3f9e67, v46, -v43
	v_fmac_f32_e32 v43, 0xbf3f9e67, v46
	v_add_f32_e32 v46, v77, v59
	v_mul_f32_e32 v55, 0x3f29c268, v41
	v_fma_f32 v59, 0xbeb58ec6, v42, -v44
	v_fmac_f32_e32 v44, 0xbeb58ec6, v42
	v_add_f32_e32 v43, v43, v47
	v_sub_f32_e32 v37, v37, v39
	v_fma_f32 v47, 0xbf3f9e67, v42, -v55
	v_add_f32_e32 v52, v59, v52
	v_fmac_f32_e32 v55, 0xbf3f9e67, v42
	v_mul_f32_e32 v59, 0x3eedf032, v41
	v_add_f32_e32 v44, v44, v48
	v_mul_f32_e32 v48, 0xbf7e222b, v41
	v_add_f32_e32 v47, v47, v51
	v_add_f32_e32 v51, v55, v56
	v_fma_f32 v55, 0x3f62ad3f, v42, -v59
	v_fmac_f32_e32 v59, 0x3f62ad3f, v42
	v_mul_f32_e32 v56, 0x3e750f2a, v41
	v_fma_f32 v75, 0x3df6dbef, v42, -v48
	v_fmac_f32_e32 v48, 0x3df6dbef, v42
	v_add_f32_e32 v38, v38, v40
	v_mul_f32_e32 v40, 0xbf29c268, v37
	v_add_f32_e32 v76, v76, v86
	v_add_f32_e32 v55, v55, v57
	;; [unrolled: 1-line block ×3, first 2 shown]
	v_fma_f32 v58, 0xbf788fa5, v42, -v56
	v_add_f32_e32 v7, v48, v7
	v_mul_f32_e32 v39, 0x3f52af12, v41
	v_fmac_f32_e32 v56, 0xbf788fa5, v42
	v_fma_f32 v48, 0xbf3f9e67, v38, -v40
	v_fmac_f32_e32 v40, 0xbf3f9e67, v38
	v_add_f32_e32 v54, v54, v76
	v_add_f32_e32 v41, v58, v45
	v_fma_f32 v45, 0x3f116cb1, v42, -v39
	v_fmac_f32_e32 v39, 0x3f116cb1, v42
	v_add_f32_e32 v42, v56, v46
	v_mul_f32_e32 v46, 0x3f7e222b, v37
	v_add_f32_e32 v40, v40, v44
	v_mul_f32_e32 v44, 0x3e750f2a, v37
	v_add_f32_e32 v45, v45, v54
	v_add_f32_e32 v39, v39, v43
	v_fma_f32 v43, 0x3df6dbef, v38, -v46
	v_add_f32_e32 v48, v48, v52
	v_mul_f32_e32 v52, 0xbf52af12, v37
	v_fmac_f32_e32 v46, 0x3df6dbef, v38
	v_fma_f32 v54, 0xbf788fa5, v38, -v44
	v_fmac_f32_e32 v44, 0xbf788fa5, v38
	v_add_f32_e32 v43, v43, v47
	v_fma_f32 v47, 0x3f116cb1, v38, -v52
	v_add_f32_e32 v46, v46, v51
	v_mul_f32_e32 v51, 0x3eedf032, v37
	v_mul_f32_e32 v37, 0xbf6f5d39, v37
	v_add_f32_e32 v7, v44, v7
	v_sub_f32_e32 v44, v33, v35
	v_add_f32_e32 v47, v47, v55
	v_fma_f32 v55, 0x3f62ad3f, v38, -v51
	v_fmac_f32_e32 v51, 0x3f62ad3f, v38
	v_fma_f32 v33, 0xbeb58ec6, v38, -v37
	v_add_f32_e32 v34, v34, v36
	v_mul_f32_e32 v35, 0xbe750f2a, v44
	v_fmac_f32_e32 v37, 0xbeb58ec6, v38
	v_fmac_f32_e32 v52, 0x3f116cb1, v38
	v_add_f32_e32 v38, v51, v42
	v_add_f32_e32 v42, v33, v45
	v_fma_f32 v33, 0xbf788fa5, v34, -v35
	v_add_f32_e32 v39, v37, v39
	v_fmac_f32_e32 v35, 0xbf788fa5, v34
	v_add_f32_e32 v37, v8, v32
	v_add_f32_e32 v79, v79, v84
	v_mul_f32_e32 v36, 0x3eedf032, v44
	v_add_f32_e32 v48, v33, v48
	v_mul_f32_e32 v51, 0xbf29c268, v44
	v_add_f32_e32 v33, v35, v40
	v_add_f32_e32 v35, v37, v26
	;; [unrolled: 1-line block ×3, first 2 shown]
	v_fma_f32 v45, 0x3f62ad3f, v34, -v36
	v_fmac_f32_e32 v36, 0x3f62ad3f, v34
	v_fma_f32 v37, 0xbf3f9e67, v34, -v51
	v_add_f32_e32 v35, v35, v22
	v_add_f32_e32 v59, v75, v78
	;; [unrolled: 1-line block ×4, first 2 shown]
	v_mul_f32_e32 v43, 0x3f52af12, v44
	v_fmac_f32_e32 v51, 0xbf3f9e67, v34
	v_add_f32_e32 v45, v36, v46
	v_add_f32_e32 v46, v37, v47
	;; [unrolled: 1-line block ×3, first 2 shown]
	v_sub_f32_e32 v35, v31, v17
	v_add_f32_e32 v54, v54, v59
	v_fma_f32 v36, 0x3f116cb1, v34, -v43
	v_add_f32_e32 v47, v51, v52
	v_fmac_f32_e32 v43, 0x3f116cb1, v34
	v_add_f32_e32 v17, v37, v14
	v_add_f32_e32 v32, v32, v18
	v_mul_f32_e32 v37, 0xbeedf032, v35
	v_sub_f32_e32 v31, v25, v19
	v_mul_f32_e32 v52, 0xbf6f5d39, v44
	v_add_f32_e32 v41, v55, v41
	v_add_f32_e32 v51, v36, v54
	;; [unrolled: 1-line block ×4, first 2 shown]
	v_fma_f32 v17, 0x3f62ad3f, v32, -v37
	v_add_f32_e32 v25, v26, v20
	v_mul_f32_e32 v36, 0xbf52af12, v31
	v_fma_f32 v19, 0xbeb58ec6, v34, -v52
	v_sub_f32_e32 v23, v21, v23
	v_add_f32_e32 v7, v7, v12
	v_add_f32_e32 v17, v8, v17
	v_fma_f32 v54, 0x3f116cb1, v25, -v36
	v_add_f32_e32 v21, v22, v24
	v_mul_f32_e32 v26, 0xbf7e222b, v23
	v_add_f32_e32 v41, v19, v41
	v_sub_f32_e32 v19, v15, v29
	v_add_f32_e32 v7, v28, v7
	v_add_f32_e32 v17, v17, v54
	v_fma_f32 v29, 0x3df6dbef, v21, -v26
	v_add_f32_e32 v16, v16, v30
	v_mul_f32_e32 v22, 0xbf6f5d39, v19
	v_sub_f32_e32 v15, v13, v27
	v_add_f32_e32 v7, v30, v7
	v_add_f32_e32 v17, v17, v29
	;; [unrolled: 1-line block ×3, first 2 shown]
	v_fma_f32 v27, 0xbeb58ec6, v16, -v22
	v_mul_f32_e32 v14, 0xbf29c268, v15
	v_sub_f32_e32 v9, v9, v11
	v_add_f32_e32 v11, v24, v7
	v_add_f32_e32 v7, v10, v12
	;; [unrolled: 1-line block ×3, first 2 shown]
	v_fma_f32 v24, 0xbf3f9e67, v13, -v14
	v_mul_f32_e32 v10, 0xbe750f2a, v9
	v_mul_f32_e32 v28, 0x3f7e222b, v44
	v_add_f32_e32 v11, v20, v11
	v_fmac_f32_e32 v52, 0xbeb58ec6, v34
	v_add_f32_e32 v17, v17, v24
	v_fma_f32 v20, 0xbf788fa5, v7, -v10
	v_fma_f32 v12, 0x3df6dbef, v34, -v28
	v_fmac_f32_e32 v28, 0x3df6dbef, v34
	v_add_f32_e32 v34, v18, v11
	v_add_nc_u32_e32 v18, 39, v3
	v_add_f32_e32 v17, v17, v20
	v_add_f32_e32 v12, v12, v42
	;; [unrolled: 1-line block ×4, first 2 shown]
	s_waitcnt lgkmcnt(0)
	s_barrier
	buffer_gl0_inv
	ds_write2_b32 v72, v53, v48 offset1:1
	ds_write2_b32 v72, v40, v46 offset0:2 offset1:3
	ds_write2_b32 v72, v51, v41 offset0:4 offset1:5
	;; [unrolled: 1-line block ×5, first 2 shown]
	ds_write_b32 v72, v33 offset:48
	s_and_saveexec_b32 s4, s1
	s_cbranch_execz .LBB0_20
; %bb.19:
	v_mul_f32_e32 v11, 0x3f62ad3f, v32
	v_mul_f32_e32 v20, 0xbf52af12, v35
	;; [unrolled: 1-line block ×7, first 2 shown]
	v_add_f32_e32 v11, v11, v37
	v_fma_f32 v29, 0x3f116cb1, v32, -v20
	v_mul_f32_e32 v44, 0xbf6f5d39, v31
	v_fma_f32 v43, 0xbf788fa5, v32, -v35
	v_fmac_f32_e32 v20, 0x3f116cb1, v32
	v_add_f32_e32 v11, v8, v11
	v_add_f32_e32 v29, v8, v29
	v_fma_f32 v38, 0x3df6dbef, v32, -v30
	v_fmac_f32_e32 v30, 0x3df6dbef, v32
	v_fma_f32 v41, 0xbeb58ec6, v32, -v39
	v_fmac_f32_e32 v39, 0xbeb58ec6, v32
	;; [unrolled: 2-line block ×3, first 2 shown]
	v_fmac_f32_e32 v35, 0xbf788fa5, v32
	v_add_f32_e32 v12, v12, v36
	v_add_f32_e32 v32, v8, v43
	v_fma_f32 v36, 0xbeb58ec6, v25, -v44
	v_mul_f32_e32 v43, 0xbe750f2a, v31
	v_add_f32_e32 v20, v8, v20
	v_add_f32_e32 v38, v8, v38
	;; [unrolled: 1-line block ×10, first 2 shown]
	v_fma_f32 v29, 0xbf788fa5, v25, -v43
	v_mul_f32_e32 v35, 0x3f29c268, v31
	v_fmac_f32_e32 v43, 0xbf788fa5, v25
	v_mul_f32_e32 v36, 0x3f7e222b, v31
	v_mul_f32_e32 v31, 0x3eedf032, v31
	v_add_f32_e32 v29, v38, v29
	v_fma_f32 v38, 0xbf3f9e67, v25, -v35
	v_add_f32_e32 v30, v30, v43
	v_fmac_f32_e32 v35, 0xbf3f9e67, v25
	v_fma_f32 v43, 0x3df6dbef, v25, -v36
	v_mul_f32_e32 v24, 0x3df6dbef, v21
	v_add_f32_e32 v38, v41, v38
	v_fma_f32 v41, 0x3f62ad3f, v25, -v31
	v_add_f32_e32 v35, v39, v35
	v_add_f32_e32 v39, v42, v43
	v_mul_f32_e32 v42, 0xbe750f2a, v23
	v_fmac_f32_e32 v44, 0xbeb58ec6, v25
	v_fmac_f32_e32 v36, 0x3df6dbef, v25
	;; [unrolled: 1-line block ×3, first 2 shown]
	v_add_f32_e32 v24, v24, v26
	v_add_f32_e32 v25, v32, v41
	v_fma_f32 v26, 0xbf788fa5, v21, -v42
	v_mul_f32_e32 v32, 0x3f6f5d39, v23
	v_add_f32_e32 v8, v8, v31
	v_add_f32_e32 v11, v11, v24
	v_mul_f32_e32 v31, 0xbf52af12, v23
	v_add_f32_e32 v12, v12, v26
	v_fma_f32 v24, 0xbeb58ec6, v21, -v32
	v_mul_f32_e32 v26, 0x3eedf032, v23
	v_mul_f32_e32 v23, 0xbf29c268, v23
	;; [unrolled: 1-line block ×3, first 2 shown]
	v_fmac_f32_e32 v32, 0xbeb58ec6, v21
	v_add_f32_e32 v24, v29, v24
	v_fma_f32 v29, 0x3f62ad3f, v21, -v26
	v_fmac_f32_e32 v26, 0x3f62ad3f, v21
	v_fmac_f32_e32 v42, 0xbf788fa5, v21
	v_add_f32_e32 v30, v30, v32
	v_fma_f32 v32, 0x3f116cb1, v21, -v31
	v_add_f32_e32 v29, v38, v29
	v_add_f32_e32 v26, v35, v26
	v_fma_f32 v35, 0xbf3f9e67, v21, -v23
	v_mul_f32_e32 v38, 0x3f29c268, v19
	v_fmac_f32_e32 v31, 0x3f116cb1, v21
	v_fmac_f32_e32 v23, 0xbf3f9e67, v21
	v_add_f32_e32 v21, v27, v22
	v_add_f32_e32 v22, v25, v35
	v_fma_f32 v25, 0xbf3f9e67, v16, -v38
	v_mul_f32_e32 v27, 0x3eedf032, v19
	v_add_f32_e32 v8, v8, v23
	v_add_f32_e32 v11, v11, v21
	v_mul_f32_e32 v23, 0xbf7e222b, v19
	v_add_f32_e32 v12, v12, v25
	v_fma_f32 v21, 0x3f62ad3f, v16, -v27
	v_fmac_f32_e32 v27, 0x3f62ad3f, v16
	v_mul_f32_e32 v25, 0x3e750f2a, v19
	v_add_f32_e32 v32, v39, v32
	v_mul_f32_e32 v19, 0x3f52af12, v19
	v_add_f32_e32 v21, v24, v21
	v_fma_f32 v24, 0x3df6dbef, v16, -v23
	v_add_f32_e32 v27, v30, v27
	v_fmac_f32_e32 v23, 0x3df6dbef, v16
	v_fma_f32 v30, 0xbf788fa5, v16, -v25
	v_mul_f32_e32 v28, 0xbf3f9e67, v13
	v_add_f32_e32 v24, v29, v24
	v_fma_f32 v29, 0x3f116cb1, v16, -v19
	v_add_f32_e32 v23, v26, v23
	v_add_f32_e32 v26, v32, v30
	v_mul_f32_e32 v30, 0x3f7e222b, v15
	v_add_f32_e32 v36, v40, v36
	v_fmac_f32_e32 v38, 0xbf3f9e67, v16
	v_fmac_f32_e32 v25, 0xbf788fa5, v16
	;; [unrolled: 1-line block ×3, first 2 shown]
	v_add_f32_e32 v14, v28, v14
	v_add_f32_e32 v16, v22, v29
	v_fma_f32 v22, 0x3df6dbef, v13, -v30
	v_mul_f32_e32 v28, 0xbf52af12, v15
	v_add_f32_e32 v20, v20, v44
	v_add_f32_e32 v31, v36, v31
	;; [unrolled: 1-line block ×5, first 2 shown]
	v_fma_f32 v14, 0x3f116cb1, v13, -v28
	v_fmac_f32_e32 v28, 0x3f116cb1, v13
	v_mul_f32_e32 v19, 0x3e750f2a, v15
	v_mul_f32_e32 v22, 0x3eedf032, v15
	;; [unrolled: 1-line block ×3, first 2 shown]
	v_add_f32_e32 v20, v20, v42
	v_add_f32_e32 v25, v31, v25
	;; [unrolled: 1-line block ×4, first 2 shown]
	v_fma_f32 v27, 0xbf788fa5, v13, -v19
	v_fmac_f32_e32 v19, 0xbf788fa5, v13
	v_fma_f32 v28, 0x3f62ad3f, v13, -v22
	v_mul_f32_e32 v15, 0xbf6f5d39, v15
	v_fmac_f32_e32 v22, 0x3f62ad3f, v13
	v_add_f32_e32 v20, v20, v38
	v_fmac_f32_e32 v30, 0x3df6dbef, v13
	v_add_f32_e32 v19, v23, v19
	v_add_f32_e32 v23, v26, v28
	v_fma_f32 v26, 0xbeb58ec6, v13, -v15
	v_add_f32_e32 v22, v25, v22
	v_fmac_f32_e32 v15, 0xbeb58ec6, v13
	v_mul_f32_e32 v13, 0x3eedf032, v9
	v_add_f32_e32 v10, v37, v10
	v_mul_f32_e32 v25, 0xbf29c268, v9
	v_add_f32_e32 v20, v20, v30
	v_add_f32_e32 v16, v16, v26
	;; [unrolled: 1-line block ×3, first 2 shown]
	v_fma_f32 v15, 0x3f62ad3f, v7, -v13
	v_add_f32_e32 v10, v11, v10
	v_fmac_f32_e32 v13, 0x3f62ad3f, v7
	v_fma_f32 v11, 0xbf3f9e67, v7, -v25
	v_mul_f32_e32 v26, 0x3f52af12, v9
	v_fmac_f32_e32 v25, 0xbf3f9e67, v7
	v_add_f32_e32 v24, v24, v27
	v_add_f32_e32 v13, v20, v13
	;; [unrolled: 1-line block ×3, first 2 shown]
	v_fma_f32 v14, 0x3f116cb1, v7, -v26
	v_mul_f32_e32 v20, 0xbf6f5d39, v9
	v_mul_f32_e32 v9, 0x3f7e222b, v9
	v_add_f32_e32 v12, v12, v15
	v_add_f32_e32 v15, v21, v25
	v_mul_u32_u24_e32 v21, 52, v18
	v_add_f32_e32 v14, v24, v14
	v_fma_f32 v24, 0xbeb58ec6, v7, -v20
	v_fma_f32 v25, 0x3df6dbef, v7, -v9
	v_fmac_f32_e32 v9, 0x3df6dbef, v7
	v_fmac_f32_e32 v26, 0x3f116cb1, v7
	;; [unrolled: 1-line block ×3, first 2 shown]
	v_add3_u32 v7, 0, v21, v71
	v_add_f32_e32 v21, v23, v24
	v_add_f32_e32 v16, v16, v25
	;; [unrolled: 1-line block ×5, first 2 shown]
	ds_write2_b32 v7, v34, v17 offset1:1
	ds_write2_b32 v7, v12, v11 offset0:2 offset1:3
	ds_write2_b32 v7, v14, v21 offset0:4 offset1:5
	;; [unrolled: 1-line block ×5, first 2 shown]
	ds_write_b32 v7, v10 offset:48
.LBB0_20:
	s_or_b32 exec_lo, exec_lo, s4
	v_add_nc_u32_e32 v13, 0x400, v0
	v_add_nc_u32_e32 v20, 0x200, v0
	s_waitcnt lgkmcnt(0)
	s_barrier
	buffer_gl0_inv
	ds_read2_b32 v[9:10], v0 offset0:117 offset1:182
	ds_read2_b32 v[7:8], v13 offset0:43 offset1:108
	;; [unrolled: 1-line block ×5, first 2 shown]
	ds_read_b32 v22, v70
	ds_read_b32 v19, v0 offset:1924
	s_and_saveexec_b32 s1, s0
	s_cbranch_execz .LBB0_22
; %bb.21:
	ds_read2_b32 v[33:34], v20 offset0:28 offset1:210
	ds_read_b32 v17, v0 offset:2080
.LBB0_22:
	s_or_b32 exec_lo, exec_lo, s1
	v_and_b32_e32 v20, 0xff, v3
	v_and_b32_e32 v21, 0xff, v18
	v_add_nc_u16 v23, v3, 0x4e
	v_add_nc_u16 v24, v3, 0x75
	;; [unrolled: 1-line block ×3, first 2 shown]
	v_mul_lo_u16 v20, 0x4f, v20
	v_mul_lo_u16 v21, 0x4f, v21
	v_and_b32_e32 v27, 0xff, v23
	v_and_b32_e32 v29, 0xff, v24
	v_mov_b32_e32 v25, 4
	v_lshrrev_b16 v20, 10, v20
	v_lshrrev_b16 v21, 10, v21
	v_mul_lo_u16 v27, 0x4f, v27
	v_and_b32_e32 v31, 0xff, v28
	v_mul_lo_u16 v29, 0x4f, v29
	v_mul_lo_u16 v26, v20, 13
	;; [unrolled: 1-line block ×3, first 2 shown]
	v_lshrrev_b16 v27, 10, v27
	v_mul_lo_u16 v31, 0x4f, v31
	v_lshrrev_b16 v29, 10, v29
	v_sub_nc_u16 v26, v3, v26
	v_sub_nc_u16 v30, v18, v30
	v_and_b32_e32 v20, 0xffff, v20
	v_lshrrev_b16 v31, 10, v31
	v_and_b32_e32 v21, 0xffff, v21
	v_lshlrev_b32_sdwa v18, v25, v26 dst_sel:DWORD dst_unused:UNUSED_PAD src0_sel:DWORD src1_sel:BYTE_0
	v_lshlrev_b32_sdwa v32, v25, v30 dst_sel:DWORD dst_unused:UNUSED_PAD src0_sel:DWORD src1_sel:BYTE_0
	v_mad_u32_u24 v20, 0x9c, v20, 0
	v_mad_u32_u24 v21, 0x9c, v21, 0
	s_clause 0x1
	global_load_dwordx4 v[35:38], v18, s[12:13]
	global_load_dwordx4 v[42:45], v32, s[12:13]
	v_mul_lo_u16 v18, v27, 13
	v_mul_lo_u16 v32, v29, 13
	v_and_b32_e32 v27, 0xffff, v27
	v_sub_nc_u16 v23, v23, v18
	v_mul_lo_u16 v18, v31, 13
	v_sub_nc_u16 v32, v24, v32
	v_lshlrev_b32_sdwa v39, v25, v23 dst_sel:DWORD dst_unused:UNUSED_PAD src0_sel:DWORD src1_sel:BYTE_0
	v_sub_nc_u16 v24, v28, v18
	v_lshlrev_b32_sdwa v18, v25, v32 dst_sel:DWORD dst_unused:UNUSED_PAD src0_sel:DWORD src1_sel:BYTE_0
	v_and_b32_e32 v28, 0xffff, v29
	global_load_dwordx4 v[51:54], v39, s[12:13]
	v_lshlrev_b32_sdwa v25, v25, v24 dst_sel:DWORD dst_unused:UNUSED_PAD src0_sel:DWORD src1_sel:BYTE_0
	s_clause 0x1
	global_load_dwordx4 v[55:58], v18, s[12:13]
	global_load_dwordx4 v[75:78], v25, s[12:13]
	v_mov_b32_e32 v18, 2
	v_mad_u32_u24 v28, 0x9c, v28, 0
	v_and_b32_e32 v25, 0xffff, v31
	s_waitcnt vmcnt(0) lgkmcnt(0)
	s_barrier
	v_lshlrev_b32_sdwa v26, v18, v26 dst_sel:DWORD dst_unused:UNUSED_PAD src0_sel:DWORD src1_sel:BYTE_0
	v_lshlrev_b32_sdwa v29, v18, v30 dst_sel:DWORD dst_unused:UNUSED_PAD src0_sel:DWORD src1_sel:BYTE_0
	v_mad_u32_u24 v30, 0x9c, v27, 0
	buffer_gl0_inv
	v_add3_u32 v27, v20, v26, v71
	v_lshlrev_b32_sdwa v20, v18, v23 dst_sel:DWORD dst_unused:UNUSED_PAD src0_sel:DWORD src1_sel:BYTE_0
	v_add3_u32 v26, v21, v29, v71
	v_lshlrev_b32_sdwa v21, v18, v32 dst_sel:DWORD dst_unused:UNUSED_PAD src0_sel:DWORD src1_sel:BYTE_0
	v_add3_u32 v29, v30, v20, v71
	v_add3_u32 v28, v28, v21, v71
	v_mul_f32_e32 v30, v61, v36
	v_mul_f32_e32 v31, v65, v38
	;; [unrolled: 1-line block ×8, first 2 shown]
	v_fma_f32 v41, v10, v35, -v30
	v_fma_f32 v39, v8, v37, -v31
	v_fmac_f32_e32 v23, v61, v35
	v_fmac_f32_e32 v40, v65, v37
	v_fma_f32 v13, v13, v44, -v36
	v_fmac_f32_e32 v20, v68, v42
	v_fma_f32 v15, v15, v42, -v32
	v_fmac_f32_e32 v21, v66, v44
	v_mul_f32_e32 v8, v16, v52
	v_mul_f32_e32 v10, v14, v54
	;; [unrolled: 1-line block ×9, first 2 shown]
	v_fmac_f32_e32 v8, v69, v51
	v_fmac_f32_e32 v10, v67, v53
	v_mul_f32_e32 v31, v17, v78
	v_fma_f32 v37, v14, v53, -v37
	v_fmac_f32_e32 v35, v64, v55
	v_fmac_f32_e32 v36, v74, v57
	v_add_f32_e32 v14, v23, v40
	v_mul_f32_e32 v43, v50, v76
	v_fma_f32 v7, v7, v55, -v38
	v_fma_f32 v38, v19, v57, -v42
	v_add_f32_e32 v19, v62, v20
	v_add_f32_e32 v42, v20, v21
	v_fma_f32 v16, v16, v51, -v32
	v_fma_f32 v32, v17, v77, -v44
	v_add_f32_e32 v44, v8, v10
	v_mul_f32_e32 v30, v34, v76
	v_fmac_f32_e32 v31, v4, v77
	v_add_f32_e32 v4, v73, v23
	v_sub_f32_e32 v17, v41, v39
	v_fmac_f32_e32 v73, -0.5, v14
	v_add_f32_e32 v47, v35, v36
	v_fma_f32 v34, v34, v75, -v43
	v_sub_f32_e32 v43, v15, v13
	v_add_f32_e32 v14, v19, v21
	v_fma_f32 v19, -0.5, v42, v62
	v_add_f32_e32 v42, v63, v8
	v_sub_f32_e32 v45, v16, v37
	v_fmac_f32_e32 v63, -0.5, v44
	v_fmac_f32_e32 v30, v50, v75
	v_add_f32_e32 v4, v4, v40
	v_add_f32_e32 v46, v60, v35
	v_sub_f32_e32 v48, v7, v38
	v_fmamk_f32 v50, v17, 0xbf5db3d7, v73
	v_fmac_f32_e32 v60, -0.5, v47
	v_fmac_f32_e32 v73, 0x3f5db3d7, v17
	v_fmamk_f32 v17, v43, 0xbf5db3d7, v19
	v_fmac_f32_e32 v19, 0x3f5db3d7, v43
	v_add_f32_e32 v42, v42, v10
	v_fmamk_f32 v44, v45, 0xbf5db3d7, v63
	v_add_f32_e32 v43, v46, v36
	v_fmac_f32_e32 v63, 0x3f5db3d7, v45
	v_fmamk_f32 v45, v48, 0xbf5db3d7, v60
	v_fmac_f32_e32 v60, 0x3f5db3d7, v48
	ds_write2_b32 v27, v4, v50 offset1:13
	ds_write_b32 v27, v73 offset:104
	ds_write2_b32 v26, v14, v17 offset1:13
	ds_write_b32 v26, v19 offset:104
	ds_write2_b32 v29, v42, v44 offset1:13
	ds_write_b32 v29, v63 offset:104
	ds_write2_b32 v28, v43, v45 offset1:13
	ds_write_b32 v28, v60 offset:104
	s_and_saveexec_b32 s1, s0
	s_cbranch_execz .LBB0_24
; %bb.23:
	v_add_f32_e32 v4, v30, v31
	v_sub_f32_e32 v14, v34, v32
	v_add_f32_e32 v17, v49, v30
	v_mad_u32_u24 v19, 0x9c, v25, 0
	v_lshlrev_b32_sdwa v18, v18, v24 dst_sel:DWORD dst_unused:UNUSED_PAD src0_sel:DWORD src1_sel:BYTE_0
	v_fma_f32 v4, -0.5, v4, v49
	v_add_f32_e32 v17, v17, v31
	v_add3_u32 v18, v19, v18, v71
	v_fmamk_f32 v19, v14, 0x3f5db3d7, v4
	v_fmac_f32_e32 v4, 0xbf5db3d7, v14
	ds_write2_b32 v18, v17, v4 offset1:13
	ds_write_b32 v18, v19 offset:104
.LBB0_24:
	s_or_b32 exec_lo, exec_lo, s1
	v_add_f32_e32 v4, v41, v39
	v_add_f32_e32 v18, v15, v13
	;; [unrolled: 1-line block ×3, first 2 shown]
	v_sub_f32_e32 v17, v23, v40
	v_add_f32_e32 v44, v12, v16
	v_fmac_f32_e32 v22, -0.5, v4
	v_add_f32_e32 v4, v11, v15
	v_sub_f32_e32 v15, v20, v21
	v_fma_f32 v40, -0.5, v18, v11
	v_add_f32_e32 v11, v16, v37
	v_add_f32_e32 v39, v14, v39
	;; [unrolled: 1-line block ×3, first 2 shown]
	v_add_nc_u32_e32 v4, 0x400, v0
	v_fmamk_f32 v41, v17, 0x3f5db3d7, v22
	v_fmac_f32_e32 v22, 0xbf5db3d7, v17
	v_fmamk_f32 v43, v15, 0x3f5db3d7, v40
	v_fmac_f32_e32 v40, 0xbf5db3d7, v15
	v_fmac_f32_e32 v12, -0.5, v11
	v_sub_f32_e32 v45, v8, v10
	v_add_f32_e32 v46, v9, v7
	v_add_f32_e32 v47, v7, v38
	s_waitcnt lgkmcnt(0)
	s_barrier
	buffer_gl0_inv
	ds_read2_b32 v[7:8], v0 offset0:39 offset1:78
	ds_read2_b32 v[19:20], v0 offset0:117 offset1:156
	ds_read2_b32 v[17:18], v0 offset0:195 offset1:234
	ds_read2_b32 v[15:16], v4 offset0:17 offset1:56
	ds_read2_b32 v[13:14], v4 offset0:95 offset1:134
	ds_read2_b32 v[10:11], v4 offset0:173 offset1:212
	ds_read_b32 v21, v70
	ds_read_b32 v23, v0 offset:2028
	v_fmac_f32_e32 v9, -0.5, v47
	v_sub_f32_e32 v35, v35, v36
	v_add_f32_e32 v36, v44, v37
	v_fmamk_f32 v37, v45, 0x3f5db3d7, v12
	v_fmac_f32_e32 v12, 0xbf5db3d7, v45
	v_add_f32_e32 v38, v46, v38
	v_fmamk_f32 v44, v35, 0x3f5db3d7, v9
	v_fmac_f32_e32 v9, 0xbf5db3d7, v35
	s_waitcnt lgkmcnt(0)
	s_barrier
	buffer_gl0_inv
	ds_write2_b32 v27, v39, v41 offset1:13
	ds_write_b32 v27, v22 offset:104
	ds_write2_b32 v26, v42, v43 offset1:13
	ds_write_b32 v26, v40 offset:104
	;; [unrolled: 2-line block ×4, first 2 shown]
	s_and_saveexec_b32 s1, s0
	s_cbranch_execz .LBB0_26
; %bb.25:
	v_add_f32_e32 v9, v34, v32
	v_mov_b32_e32 v12, 2
	v_add_f32_e32 v22, v33, v34
	v_sub_f32_e32 v26, v30, v31
	v_mad_u32_u24 v25, 0x9c, v25, 0
	v_fmac_f32_e32 v33, -0.5, v9
	v_lshlrev_b32_sdwa v9, v12, v24 dst_sel:DWORD dst_unused:UNUSED_PAD src0_sel:DWORD src1_sel:BYTE_0
	v_add_f32_e32 v12, v22, v32
	v_fmamk_f32 v22, v26, 0x3f5db3d7, v33
	v_add3_u32 v9, v25, v9, v71
	v_fmamk_f32 v24, v26, 0xbf5db3d7, v33
	ds_write2_b32 v9, v12, v22 offset1:13
	ds_write_b32 v9, v24 offset:104
.LBB0_26:
	s_or_b32 exec_lo, exec_lo, s1
	v_mul_u32_u24_e32 v9, 6, v3
	s_waitcnt lgkmcnt(0)
	s_barrier
	buffer_gl0_inv
	v_add_nc_u32_e32 v22, 0x200, v0
	v_lshlrev_b32_e32 v9, 3, v9
	s_clause 0x2
	global_load_dwordx4 v[24:27], v9, s[12:13] offset:208
	global_load_dwordx4 v[28:31], v9, s[12:13] offset:224
	;; [unrolled: 1-line block ×3, first 2 shown]
	ds_read2_b32 v[36:37], v0 offset0:39 offset1:78
	ds_read2_b32 v[38:39], v0 offset0:117 offset1:156
	;; [unrolled: 1-line block ×6, first 2 shown]
	ds_read_b32 v9, v70
	ds_read_b32 v12, v0 offset:2028
	s_waitcnt vmcnt(0) lgkmcnt(0)
	s_barrier
	buffer_gl0_inv
	v_mul_f32_e32 v48, v37, v25
	v_mul_f32_e32 v49, v8, v25
	;; [unrolled: 1-line block ×24, first 2 shown]
	v_fmac_f32_e32 v48, v8, v24
	v_fma_f32 v8, v37, v24, -v49
	v_fmac_f32_e32 v50, v20, v26
	v_fmac_f32_e32 v56, v14, v32
	;; [unrolled: 1-line block ×3, first 2 shown]
	v_fma_f32 v11, v47, v34, -v59
	v_fma_f32 v20, v39, v26, -v51
	v_fmac_f32_e32 v52, v18, v28
	v_fma_f32 v18, v41, v28, -v53
	v_fmac_f32_e32 v54, v16, v30
	v_fma_f32 v16, v43, v30, -v55
	v_fma_f32 v14, v45, v32, -v57
	v_fmac_f32_e32 v60, v19, v24
	v_fma_f32 v19, v38, v24, -v25
	v_fmac_f32_e32 v61, v17, v26
	v_fmac_f32_e32 v64, v10, v32
	v_fmac_f32_e32 v65, v23, v34
	v_fma_f32 v12, v12, v34, -v35
	v_fma_f32 v17, v40, v26, -v27
	v_fmac_f32_e32 v62, v15, v28
	v_fma_f32 v15, v42, v28, -v29
	v_fmac_f32_e32 v63, v13, v30
	v_fma_f32 v13, v44, v30, -v31
	v_fma_f32 v10, v46, v32, -v33
	v_add_f32_e32 v23, v48, v58
	v_add_f32_e32 v24, v8, v11
	v_sub_f32_e32 v8, v8, v11
	v_add_f32_e32 v11, v50, v56
	v_add_f32_e32 v26, v20, v14
	v_sub_f32_e32 v14, v20, v14
	;; [unrolled: 3-line block ×4, first 2 shown]
	v_add_f32_e32 v19, v61, v64
	v_add_f32_e32 v32, v17, v10
	v_add_f32_e32 v34, v15, v13
	v_sub_f32_e32 v13, v13, v15
	v_add_f32_e32 v15, v11, v23
	v_sub_f32_e32 v25, v48, v58
	v_sub_f32_e32 v27, v50, v56
	;; [unrolled: 1-line block ×4, first 2 shown]
	v_add_f32_e32 v17, v62, v63
	v_add_f32_e32 v37, v26, v24
	v_sub_f32_e32 v38, v11, v23
	v_sub_f32_e32 v39, v26, v24
	;; [unrolled: 1-line block ×5, first 2 shown]
	v_add_f32_e32 v41, v16, v14
	v_sub_f32_e32 v43, v16, v14
	v_sub_f32_e32 v14, v14, v8
	v_add_f32_e32 v44, v19, v18
	v_add_f32_e32 v45, v32, v30
	;; [unrolled: 1-line block ×3, first 2 shown]
	v_sub_f32_e32 v26, v28, v26
	v_add_f32_e32 v40, v29, v27
	v_sub_f32_e32 v42, v29, v27
	v_sub_f32_e32 v27, v27, v25
	v_add_f32_e32 v49, v13, v10
	v_sub_f32_e32 v51, v13, v10
	v_sub_f32_e32 v10, v10, v12
	;; [unrolled: 1-line block ×9, first 2 shown]
	v_add_f32_e32 v20, v28, v37
	v_add_f32_e32 v8, v41, v8
	v_mul_f32_e32 v23, 0x3f4a47b2, v23
	v_mul_f32_e32 v24, 0x3f4a47b2, v24
	v_mul_f32_e32 v28, 0x3d64c772, v11
	v_mul_f32_e32 v41, 0x3f08b237, v43
	v_mul_f32_e32 v43, 0xbf5ff5aa, v14
	v_add_f32_e32 v17, v17, v44
	v_sub_f32_e32 v47, v32, v30
	v_sub_f32_e32 v30, v30, v34
	;; [unrolled: 1-line block ×3, first 2 shown]
	v_add_f32_e32 v34, v34, v45
	v_add_f32_e32 v21, v21, v15
	v_sub_f32_e32 v29, v25, v29
	v_sub_f32_e32 v13, v12, v13
	v_add_f32_e32 v25, v40, v25
	v_mul_f32_e32 v37, 0x3d64c772, v26
	v_mul_f32_e32 v40, 0x3f08b237, v42
	;; [unrolled: 1-line block ×3, first 2 shown]
	v_add_f32_e32 v12, v49, v12
	v_mul_f32_e32 v49, 0x3f08b237, v51
	v_mul_f32_e32 v51, 0xbf5ff5aa, v10
	v_add_f32_e32 v48, v35, v33
	v_sub_f32_e32 v50, v35, v33
	v_sub_f32_e32 v33, v33, v31
	v_mul_f32_e32 v18, 0x3f4a47b2, v18
	v_mul_f32_e32 v44, 0x3d64c772, v19
	v_add_f32_e32 v52, v9, v20
	v_fmamk_f32 v9, v11, 0x3d64c772, v23
	v_fmamk_f32 v11, v26, 0x3d64c772, v24
	v_fma_f32 v26, 0x3f3bfb3b, v38, -v28
	v_fma_f32 v23, 0xbf3bfb3b, v38, -v23
	v_fmamk_f32 v38, v16, 0xbeae86e6, v41
	v_fma_f32 v14, 0xbf5ff5aa, v14, -v41
	v_fma_f32 v16, 0x3eae86e6, v16, -v43
	v_add_f32_e32 v7, v7, v17
	v_mul_f32_e32 v30, 0x3f4a47b2, v30
	v_mul_f32_e32 v45, 0x3d64c772, v32
	v_add_f32_e32 v36, v36, v34
	v_fmamk_f32 v15, v15, 0xbf955555, v21
	v_fma_f32 v28, 0x3f3bfb3b, v39, -v37
	v_fmamk_f32 v37, v29, 0xbeae86e6, v40
	v_fma_f32 v29, 0x3eae86e6, v29, -v42
	;; [unrolled: 2-line block ×3, first 2 shown]
	v_fma_f32 v13, 0x3eae86e6, v13, -v51
	v_sub_f32_e32 v35, v31, v35
	v_add_f32_e32 v31, v48, v31
	v_mul_f32_e32 v48, 0x3f08b237, v50
	v_mul_f32_e32 v50, 0xbf5ff5aa, v33
	v_fma_f32 v24, 0xbf3bfb3b, v39, -v24
	v_fma_f32 v27, 0xbf5ff5aa, v27, -v40
	v_fmamk_f32 v19, v19, 0x3d64c772, v18
	v_fma_f32 v39, 0x3f3bfb3b, v46, -v44
	v_fma_f32 v18, 0xbf3bfb3b, v46, -v18
	v_fmamk_f32 v20, v20, 0xbf955555, v52
	v_fmac_f32_e32 v38, 0xbee1c552, v8
	v_fmac_f32_e32 v14, 0xbee1c552, v8
	;; [unrolled: 1-line block ×3, first 2 shown]
	v_fmamk_f32 v8, v17, 0xbf955555, v7
	v_fmamk_f32 v32, v32, 0x3d64c772, v30
	v_fma_f32 v40, 0x3f3bfb3b, v47, -v45
	v_fma_f32 v30, 0xbf3bfb3b, v47, -v30
	v_fmamk_f32 v17, v34, 0xbf955555, v36
	v_add_f32_e32 v9, v9, v15
	v_fmac_f32_e32 v42, 0xbee1c552, v12
	v_fmac_f32_e32 v10, 0xbee1c552, v12
	;; [unrolled: 1-line block ×3, first 2 shown]
	v_add_f32_e32 v12, v26, v15
	v_add_f32_e32 v15, v23, v15
	v_fmamk_f32 v41, v35, 0xbeae86e6, v48
	v_fma_f32 v33, 0xbf5ff5aa, v33, -v48
	v_fma_f32 v35, 0x3eae86e6, v35, -v50
	v_fmac_f32_e32 v37, 0xbee1c552, v25
	v_fmac_f32_e32 v27, 0xbee1c552, v25
	;; [unrolled: 1-line block ×3, first 2 shown]
	v_add_f32_e32 v11, v11, v20
	v_add_f32_e32 v25, v28, v20
	;; [unrolled: 1-line block ×11, first 2 shown]
	v_sub_f32_e32 v32, v12, v14
	v_add_f32_e32 v12, v14, v12
	v_sub_f32_e32 v14, v15, v16
	v_sub_f32_e32 v9, v9, v38
	v_fmac_f32_e32 v41, 0xbee1c552, v31
	v_fmac_f32_e32 v33, 0xbee1c552, v31
	;; [unrolled: 1-line block ×3, first 2 shown]
	v_sub_f32_e32 v30, v11, v37
	v_sub_f32_e32 v31, v20, v29
	v_add_f32_e32 v34, v27, v25
	v_sub_f32_e32 v25, v25, v27
	v_add_f32_e32 v27, v29, v20
	v_add_f32_e32 v29, v37, v11
	;; [unrolled: 1-line block ×4, first 2 shown]
	v_sub_f32_e32 v16, v24, v10
	v_add_f32_e32 v10, v10, v24
	v_sub_f32_e32 v8, v8, v13
	v_sub_f32_e32 v13, v19, v42
	ds_write2_b32 v0, v21, v17 offset1:39
	ds_write2_b32 v0, v18, v32 offset0:78 offset1:117
	ds_write2_b32 v0, v12, v14 offset0:156 offset1:195
	;; [unrolled: 1-line block ×6, first 2 shown]
	s_waitcnt lgkmcnt(0)
	s_barrier
	buffer_gl0_inv
	ds_read2_b32 v[13:14], v4 offset0:17 offset1:56
	ds_read2_b32 v[7:8], v0 offset0:39 offset1:78
	;; [unrolled: 1-line block ×6, first 2 shown]
	ds_read_b32 v19, v70
	ds_read_b32 v20, v0 offset:2028
	v_sub_f32_e32 v21, v23, v41
	v_sub_f32_e32 v24, v28, v35
	v_add_f32_e32 v32, v33, v26
	v_sub_f32_e32 v26, v26, v33
	v_add_f32_e32 v28, v35, v28
	v_add_f32_e32 v23, v41, v23
	s_waitcnt lgkmcnt(0)
	s_barrier
	buffer_gl0_inv
	ds_write2_b32 v0, v52, v30 offset1:39
	ds_write2_b32 v0, v31, v34 offset0:78 offset1:117
	ds_write2_b32 v0, v25, v27 offset0:156 offset1:195
	;; [unrolled: 1-line block ×6, first 2 shown]
	s_waitcnt lgkmcnt(0)
	s_barrier
	buffer_gl0_inv
	s_and_saveexec_b32 s0, vcc_lo
	s_cbranch_execz .LBB0_28
; %bb.27:
	v_mov_b32_e32 v4, 0
	v_mul_hi_u32 v52, 0xe01e01e1, v3
	v_add_nc_u32_e32 v55, 39, v3
	v_add_nc_u32_e32 v58, 0x4e, v3
	;; [unrolled: 1-line block ×3, first 2 shown]
	v_lshlrev_b64 v[21:22], 3, v[3:4]
	v_add_nc_u32_e32 v62, 0x9c, v3
	v_mul_lo_u32 v47, s3, v5
	v_mul_lo_u32 v49, s2, v6
	v_mad_u64_u32 v[5:6], null, s2, v5, 0
	v_add_co_u32 v21, vcc_lo, s12, v21
	v_add_co_ci_u32_e32 v22, vcc_lo, s13, v22, vcc_lo
	v_add_nc_u32_e32 v63, 0xc3, v3
	v_add_co_u32 v21, vcc_lo, 0x800, v21
	v_add_co_ci_u32_e32 v22, vcc_lo, 0, v22, vcc_lo
	v_add_nc_u32_e32 v64, 0xea, v3
	v_mul_hi_u32 v65, 0xe01e01e1, v55
	v_mul_hi_u32 v66, 0xe01e01e1, v58
	s_clause 0x6
	global_load_dwordx2 v[23:24], v[21:22], off offset:1904
	global_load_dwordx2 v[25:26], v[21:22], off offset:1592
	global_load_dwordx2 v[27:28], v[21:22], off offset:1280
	global_load_dwordx2 v[29:30], v[21:22], off offset:968
	global_load_dwordx2 v[31:32], v[21:22], off offset:656
	global_load_dwordx2 v[33:34], v[21:22], off offset:344
	global_load_dwordx2 v[21:22], v[21:22], off offset:32
	v_mul_hi_u32 v67, 0xe01e01e1, v61
	v_mul_hi_u32 v68, 0xe01e01e1, v62
	ds_read2_b32 v[35:36], v0 offset0:195 offset1:234
	ds_read2_b32 v[37:38], v0 offset0:117 offset1:156
	;; [unrolled: 1-line block ×3, first 2 shown]
	ds_read_b32 v73, v0 offset:2028
	ds_read_b32 v74, v70
	v_mul_hi_u32 v69, 0xe01e01e1, v63
	v_sub_nc_u32_e32 v70, v3, v52
	v_add3_u32 v6, v6, v49, v47
	v_mul_hi_u32 v47, 0xe01e01e1, v64
	v_sub_nc_u32_e32 v71, v58, v66
	v_sub_nc_u32_e32 v72, v61, v67
	v_lshrrev_b32_e32 v49, 1, v70
	v_sub_nc_u32_e32 v70, v55, v65
	v_sub_nc_u32_e32 v75, v62, v68
	v_lshlrev_b64 v[5:6], 3, v[5:6]
	v_sub_nc_u32_e32 v76, v63, v69
	v_sub_nc_u32_e32 v77, v64, v47
	v_add_nc_u32_e32 v49, v49, v52
	v_lshrrev_b32_e32 v52, 1, v70
	v_lshrrev_b32_e32 v70, 1, v71
	;; [unrolled: 1-line block ×4, first 2 shown]
	v_add_nc_u32_e32 v45, 0x400, v0
	v_lshlrev_b64 v[0:1], 3, v[1:2]
	v_lshrrev_b32_e32 v75, 1, v76
	v_add_co_u32 v5, vcc_lo, s10, v5
	v_lshrrev_b32_e32 v76, 1, v77
	v_add_co_ci_u32_e32 v6, vcc_lo, s11, v6, vcc_lo
	v_lshrrev_b32_e32 v49, 8, v49
	v_add_nc_u32_e32 v52, v52, v65
	v_add_nc_u32_e32 v65, v70, v66
	;; [unrolled: 1-line block ×5, first 2 shown]
	v_add_co_u32 v75, vcc_lo, v5, v0
	v_add_nc_u32_e32 v47, v76, v47
	v_add_co_ci_u32_e32 v76, vcc_lo, v6, v1, vcc_lo
	v_mul_u32_u24_e32 v0, 0x111, v49
	v_lshrrev_b32_e32 v1, 8, v52
	v_lshrrev_b32_e32 v49, 8, v65
	;; [unrolled: 1-line block ×6, first 2 shown]
	v_sub_nc_u32_e32 v0, v3, v0
	v_mul_u32_u24_e32 v3, 0x111, v1
	v_mul_u32_u24_e32 v5, 0x111, v49
	;; [unrolled: 1-line block ×6, first 2 shown]
	v_sub_nc_u32_e32 v3, v55, v3
	v_sub_nc_u32_e32 v55, v58, v5
	;; [unrolled: 1-line block ×4, first 2 shown]
	v_lshlrev_b32_e32 v0, 3, v0
	v_mov_b32_e32 v2, v4
	v_sub_nc_u32_e32 v62, v63, v68
	v_sub_nc_u32_e32 v63, v64, v69
	v_mad_u32_u24 v1, 0x222, v1, v3
	v_mov_b32_e32 v50, v4
	v_mov_b32_e32 v53, v4
	;; [unrolled: 1-line block ×3, first 2 shown]
	v_mad_u32_u24 v49, 0x222, v49, v55
	v_mad_u32_u24 v52, 0x222, v52, v58
	;; [unrolled: 1-line block ×3, first 2 shown]
	v_add_co_u32 v5, vcc_lo, v75, v0
	v_add_co_ci_u32_e32 v6, vcc_lo, 0, v76, vcc_lo
	v_mad_u32_u24 v3, 0x222, v47, v63
	v_lshlrev_b64 v[63:64], 3, v[1:2]
	v_mov_b32_e32 v51, v4
	v_mov_b32_e32 v54, v4
	;; [unrolled: 1-line block ×3, first 2 shown]
	v_mad_u32_u24 v58, 0x222, v66, v62
	v_add_nc_u32_e32 v47, 0x111, v1
	v_lshlrev_b64 v[0:1], 3, v[49:50]
	v_add_nc_u32_e32 v50, 0x111, v49
	v_lshlrev_b64 v[65:66], 3, v[52:53]
	;; [unrolled: 2-line block ×3, first 2 shown]
	v_add_nc_u32_e32 v56, 0x111, v55
	v_mov_b32_e32 v59, v4
	v_add_co_u32 v61, vcc_lo, 0x800, v5
	v_add_co_ci_u32_e32 v62, vcc_lo, 0, v6, vcc_lo
	v_lshlrev_b64 v[49:50], 3, v[50:51]
	v_lshlrev_b64 v[51:52], 3, v[53:54]
	;; [unrolled: 1-line block ×3, first 2 shown]
	v_add_co_u32 v57, vcc_lo, v75, v63
	v_mov_b32_e32 v60, v4
	v_lshlrev_b64 v[69:70], 3, v[58:59]
	v_add_nc_u32_e32 v59, 0x111, v58
	v_add_co_ci_u32_e32 v58, vcc_lo, v76, v64, vcc_lo
	v_add_co_u32 v0, vcc_lo, v75, v0
	v_add_co_ci_u32_e32 v1, vcc_lo, v76, v1, vcc_lo
	v_lshlrev_b64 v[55:56], 3, v[59:60]
	v_add_co_u32 v59, vcc_lo, v75, v65
	v_mov_b32_e32 v48, v4
	v_add_co_ci_u32_e32 v60, vcc_lo, v76, v66, vcc_lo
	v_lshlrev_b64 v[71:72], 3, v[3:4]
	v_add_co_u32 v63, vcc_lo, v75, v67
	v_add_co_ci_u32_e32 v64, vcc_lo, v76, v68, vcc_lo
	v_lshlrev_b64 v[47:48], 3, v[47:48]
	v_add_co_u32 v65, vcc_lo, v75, v69
	v_add_co_ci_u32_e32 v66, vcc_lo, v76, v70, vcc_lo
	ds_read2_b32 v[41:42], v45 offset0:173 offset1:212
	ds_read2_b32 v[43:44], v45 offset0:95 offset1:134
	;; [unrolled: 1-line block ×3, first 2 shown]
	v_add_co_u32 v67, vcc_lo, v75, v71
	v_add_co_ci_u32_e32 v68, vcc_lo, v76, v72, vcc_lo
	v_add_co_u32 v47, vcc_lo, v75, v47
	v_add_co_ci_u32_e32 v48, vcc_lo, v76, v48, vcc_lo
	v_add_co_u32 v49, vcc_lo, v75, v49
	v_add_nc_u32_e32 v3, 0x111, v3
	v_add_co_ci_u32_e32 v50, vcc_lo, v76, v50, vcc_lo
	v_add_co_u32 v51, vcc_lo, v75, v51
	v_add_co_ci_u32_e32 v52, vcc_lo, v76, v52, vcc_lo
	v_lshlrev_b64 v[2:3], 3, v[3:4]
	v_add_co_u32 v53, vcc_lo, v75, v53
	v_add_co_ci_u32_e32 v54, vcc_lo, v76, v54, vcc_lo
	v_add_co_u32 v55, vcc_lo, v75, v55
	v_add_co_ci_u32_e32 v56, vcc_lo, v76, v56, vcc_lo
	;; [unrolled: 2-line block ×3, first 2 shown]
	s_waitcnt vmcnt(6)
	v_mul_f32_e32 v4, v20, v24
	s_waitcnt lgkmcnt(4)
	v_mul_f32_e32 v24, v73, v24
	s_waitcnt vmcnt(5)
	v_mul_f32_e32 v69, v18, v26
	s_waitcnt lgkmcnt(2)
	v_mul_f32_e32 v26, v42, v26
	s_waitcnt vmcnt(4)
	v_mul_f32_e32 v70, v17, v28
	v_mul_f32_e32 v28, v41, v28
	s_waitcnt vmcnt(0)
	v_mul_f32_e32 v76, v13, v22
	s_waitcnt lgkmcnt(0)
	v_mul_f32_e32 v77, v45, v22
	v_mul_f32_e32 v75, v14, v34
	;; [unrolled: 1-line block ×7, first 2 shown]
	v_fmac_f32_e32 v24, v20, v23
	v_fma_f32 v20, v42, v25, -v69
	v_fmac_f32_e32 v26, v18, v25
	v_fma_f32 v18, v41, v27, -v70
	;; [unrolled: 2-line block ×5, first 2 shown]
	v_fma_f32 v22, v44, v29, -v71
	v_fma_f32 v23, v43, v31, -v72
	v_fmac_f32_e32 v32, v15, v31
	v_fmac_f32_e32 v30, v16, v29
	v_sub_f32_e32 v13, v12, v24
	v_sub_f32_e32 v16, v35, v20
	;; [unrolled: 1-line block ×14, first 2 shown]
	v_fma_f32 v28, v12, 2.0, -v13
	v_fma_f32 v12, v35, 2.0, -v16
	;; [unrolled: 1-line block ×14, first 2 shown]
	global_store_dwordx2 v[61:62], v[26:27], off offset:136
	global_store_dwordx2 v[5:6], v[34:35], off
	global_store_dwordx2 v[57:58], v[32:33], off
	;; [unrolled: 1-line block ×13, first 2 shown]
.LBB0_28:
	s_endpgm
	.section	.rodata,"a",@progbits
	.p2align	6, 0x0
	.amdhsa_kernel fft_rtc_back_len546_factors_13_3_7_2_wgs_117_tpt_39_halfLds_sp_op_CI_CI_unitstride_sbrr_dirReg
		.amdhsa_group_segment_fixed_size 0
		.amdhsa_private_segment_fixed_size 0
		.amdhsa_kernarg_size 104
		.amdhsa_user_sgpr_count 6
		.amdhsa_user_sgpr_private_segment_buffer 1
		.amdhsa_user_sgpr_dispatch_ptr 0
		.amdhsa_user_sgpr_queue_ptr 0
		.amdhsa_user_sgpr_kernarg_segment_ptr 1
		.amdhsa_user_sgpr_dispatch_id 0
		.amdhsa_user_sgpr_flat_scratch_init 0
		.amdhsa_user_sgpr_private_segment_size 0
		.amdhsa_wavefront_size32 1
		.amdhsa_uses_dynamic_stack 0
		.amdhsa_system_sgpr_private_segment_wavefront_offset 0
		.amdhsa_system_sgpr_workgroup_id_x 1
		.amdhsa_system_sgpr_workgroup_id_y 0
		.amdhsa_system_sgpr_workgroup_id_z 0
		.amdhsa_system_sgpr_workgroup_info 0
		.amdhsa_system_vgpr_workitem_id 0
		.amdhsa_next_free_vgpr 109
		.amdhsa_next_free_sgpr 27
		.amdhsa_reserve_vcc 1
		.amdhsa_reserve_flat_scratch 0
		.amdhsa_float_round_mode_32 0
		.amdhsa_float_round_mode_16_64 0
		.amdhsa_float_denorm_mode_32 3
		.amdhsa_float_denorm_mode_16_64 3
		.amdhsa_dx10_clamp 1
		.amdhsa_ieee_mode 1
		.amdhsa_fp16_overflow 0
		.amdhsa_workgroup_processor_mode 1
		.amdhsa_memory_ordered 1
		.amdhsa_forward_progress 0
		.amdhsa_shared_vgpr_count 0
		.amdhsa_exception_fp_ieee_invalid_op 0
		.amdhsa_exception_fp_denorm_src 0
		.amdhsa_exception_fp_ieee_div_zero 0
		.amdhsa_exception_fp_ieee_overflow 0
		.amdhsa_exception_fp_ieee_underflow 0
		.amdhsa_exception_fp_ieee_inexact 0
		.amdhsa_exception_int_div_zero 0
	.end_amdhsa_kernel
	.text
.Lfunc_end0:
	.size	fft_rtc_back_len546_factors_13_3_7_2_wgs_117_tpt_39_halfLds_sp_op_CI_CI_unitstride_sbrr_dirReg, .Lfunc_end0-fft_rtc_back_len546_factors_13_3_7_2_wgs_117_tpt_39_halfLds_sp_op_CI_CI_unitstride_sbrr_dirReg
                                        ; -- End function
	.section	.AMDGPU.csdata,"",@progbits
; Kernel info:
; codeLenInByte = 12196
; NumSgprs: 29
; NumVgprs: 109
; ScratchSize: 0
; MemoryBound: 0
; FloatMode: 240
; IeeeMode: 1
; LDSByteSize: 0 bytes/workgroup (compile time only)
; SGPRBlocks: 3
; VGPRBlocks: 13
; NumSGPRsForWavesPerEU: 29
; NumVGPRsForWavesPerEU: 109
; Occupancy: 9
; WaveLimiterHint : 1
; COMPUTE_PGM_RSRC2:SCRATCH_EN: 0
; COMPUTE_PGM_RSRC2:USER_SGPR: 6
; COMPUTE_PGM_RSRC2:TRAP_HANDLER: 0
; COMPUTE_PGM_RSRC2:TGID_X_EN: 1
; COMPUTE_PGM_RSRC2:TGID_Y_EN: 0
; COMPUTE_PGM_RSRC2:TGID_Z_EN: 0
; COMPUTE_PGM_RSRC2:TIDIG_COMP_CNT: 0
	.text
	.p2alignl 6, 3214868480
	.fill 48, 4, 3214868480
	.type	__hip_cuid_30d64ef4114816d5,@object ; @__hip_cuid_30d64ef4114816d5
	.section	.bss,"aw",@nobits
	.globl	__hip_cuid_30d64ef4114816d5
__hip_cuid_30d64ef4114816d5:
	.byte	0                               ; 0x0
	.size	__hip_cuid_30d64ef4114816d5, 1

	.ident	"AMD clang version 19.0.0git (https://github.com/RadeonOpenCompute/llvm-project roc-6.4.0 25133 c7fe45cf4b819c5991fe208aaa96edf142730f1d)"
	.section	".note.GNU-stack","",@progbits
	.addrsig
	.addrsig_sym __hip_cuid_30d64ef4114816d5
	.amdgpu_metadata
---
amdhsa.kernels:
  - .args:
      - .actual_access:  read_only
        .address_space:  global
        .offset:         0
        .size:           8
        .value_kind:     global_buffer
      - .offset:         8
        .size:           8
        .value_kind:     by_value
      - .actual_access:  read_only
        .address_space:  global
        .offset:         16
        .size:           8
        .value_kind:     global_buffer
      - .actual_access:  read_only
        .address_space:  global
        .offset:         24
        .size:           8
        .value_kind:     global_buffer
      - .actual_access:  read_only
        .address_space:  global
        .offset:         32
        .size:           8
        .value_kind:     global_buffer
      - .offset:         40
        .size:           8
        .value_kind:     by_value
      - .actual_access:  read_only
        .address_space:  global
        .offset:         48
        .size:           8
        .value_kind:     global_buffer
      - .actual_access:  read_only
        .address_space:  global
        .offset:         56
        .size:           8
        .value_kind:     global_buffer
      - .offset:         64
        .size:           4
        .value_kind:     by_value
      - .actual_access:  read_only
        .address_space:  global
        .offset:         72
        .size:           8
        .value_kind:     global_buffer
      - .actual_access:  read_only
        .address_space:  global
        .offset:         80
        .size:           8
        .value_kind:     global_buffer
      - .actual_access:  read_only
        .address_space:  global
        .offset:         88
        .size:           8
        .value_kind:     global_buffer
      - .actual_access:  write_only
        .address_space:  global
        .offset:         96
        .size:           8
        .value_kind:     global_buffer
    .group_segment_fixed_size: 0
    .kernarg_segment_align: 8
    .kernarg_segment_size: 104
    .language:       OpenCL C
    .language_version:
      - 2
      - 0
    .max_flat_workgroup_size: 117
    .name:           fft_rtc_back_len546_factors_13_3_7_2_wgs_117_tpt_39_halfLds_sp_op_CI_CI_unitstride_sbrr_dirReg
    .private_segment_fixed_size: 0
    .sgpr_count:     29
    .sgpr_spill_count: 0
    .symbol:         fft_rtc_back_len546_factors_13_3_7_2_wgs_117_tpt_39_halfLds_sp_op_CI_CI_unitstride_sbrr_dirReg.kd
    .uniform_work_group_size: 1
    .uses_dynamic_stack: false
    .vgpr_count:     109
    .vgpr_spill_count: 0
    .wavefront_size: 32
    .workgroup_processor_mode: 1
amdhsa.target:   amdgcn-amd-amdhsa--gfx1030
amdhsa.version:
  - 1
  - 2
...

	.end_amdgpu_metadata
